;; amdgpu-corpus repo=ROCm/rccl kind=compiled arch=gfx1100 opt=O3
	.text
	.amdgcn_target "amdgcn-amd-amdhsa--gfx1100"
	.amdhsa_code_object_version 6
	.protected	_Z23ncclDevKernel_Generic_124ncclDevKernelArgsStorageILm4096EE ; -- Begin function _Z23ncclDevKernel_Generic_124ncclDevKernelArgsStorageILm4096EE
	.globl	_Z23ncclDevKernel_Generic_124ncclDevKernelArgsStorageILm4096EE
	.p2align	8
	.type	_Z23ncclDevKernel_Generic_124ncclDevKernelArgsStorageILm4096EE,@function
_Z23ncclDevKernel_Generic_124ncclDevKernelArgsStorageILm4096EE: ; @_Z23ncclDevKernel_Generic_124ncclDevKernelArgsStorageILm4096EE
; %bb.0:
	v_mov_b32_e32 v40, v0
	s_mov_b32 s33, s15
	s_mov_b32 s40, s14
	;; [unrolled: 1-line block ×3, first 2 shown]
	s_mov_b64 s[34:35], s[4:5]
	v_and_b32_e32 v9, 0x3ff, v40
	s_mov_b64 s[36:37], s[2:3]
	s_mov_b64 s[38:39], s[0:1]
	s_mov_b32 s0, exec_lo
	s_mov_b32 s32, 0
	v_cmpx_gt_u32_e32 12, v9
	s_cbranch_execz .LBB0_2
; %bb.1:
	v_lshlrev_b32_e32 v0, 2, v9
	global_load_b32 v1, v0, s[36:37]
	s_waitcnt vmcnt(0)
	ds_store_b32 v0, v1 offset:16512
.LBB0_2:
	s_or_b32 exec_lo, exec_lo, s0
	s_load_b32 s4, s[36:37], 0x100c
	v_lshrrev_b32_e32 v10, 5, v9
	s_mov_b32 s0, exec_lo
	s_delay_alu instid0(VALU_DEP_1)
	v_cmpx_lt_i32_e32 0, v10
	s_xor_b32 s0, exec_lo, s0
	s_cbranch_execz .LBB0_16
; %bb.3:
	s_mov_b32 s1, exec_lo
	v_cmpx_lt_i32_e32 2, v10
	s_xor_b32 s1, exec_lo, s1
	s_cbranch_execz .LBB0_8
; %bb.4:
	s_mov_b32 s2, exec_lo
	v_cmpx_eq_u32_e32 3, v10
	s_cbranch_execz .LBB0_7
; %bb.5:
	v_cmp_eq_u32_e32 vcc_lo, 0x60, v9
	s_and_b32 exec_lo, exec_lo, vcc_lo
	s_cbranch_execz .LBB0_7
; %bb.6:
	v_mov_b32_e32 v0, 0
	ds_store_b32 v0, v0 offset:16564
.LBB0_7:
	s_or_b32 exec_lo, exec_lo, s2
.LBB0_8:
	s_and_not1_saveexec_b32 s1, s1
	s_cbranch_execz .LBB0_15
; %bb.9:
	s_mov_b32 s2, exec_lo
	v_cmpx_eq_u32_e32 1, v10
	s_cbranch_execz .LBB0_14
; %bb.10:
	v_cmp_gt_u32_e32 vcc_lo, 40, v9
	s_and_b32 exec_lo, exec_lo, vcc_lo
	s_cbranch_execz .LBB0_14
; %bb.11:
	s_mov_b32 s3, exec_lo
	v_cmpx_eq_u32_e32 32, v9
	s_cbranch_execz .LBB0_13
; %bb.12:
	v_mov_b32_e32 v0, 0
	s_delay_alu instid0(VALU_DEP_1)
	v_mov_b32_e32 v1, v0
	ds_store_b64 v0, v[0:1] offset:21208
.LBB0_13:
	s_or_b32 exec_lo, exec_lo, s3
	v_mov_b32_e32 v0, 0
	v_mul_u32_u24_e32 v2, 0x160, v9
	s_delay_alu instid0(VALU_DEP_2)
	v_mov_b32_e32 v1, v0
	ds_store_b64 v2, v[0:1] offset:6104
.LBB0_14:
	s_or_b32 exec_lo, exec_lo, s2
.LBB0_15:
	s_delay_alu instid0(SALU_CYCLE_1)
	s_or_b32 exec_lo, exec_lo, s1
.LBB0_16:
	s_and_not1_saveexec_b32 s5, s0
	s_cbranch_execz .LBB0_32
; %bb.17:
	s_load_b64 s[2:3], s[36:37], 0x8
	v_lshlrev_b64 v[0:1], v9, 1
	s_mov_b32 s6, 0
	s_mov_b32 s1, exec_lo
                                        ; implicit-def: $sgpr7
	s_waitcnt lgkmcnt(0)
	s_delay_alu instid0(VALU_DEP_1) | instskip(NEXT) | instid1(VALU_DEP_2)
	v_and_b32_e32 v3, s3, v1
	v_and_b32_e32 v2, s2, v0
	s_delay_alu instid0(VALU_DEP_1)
	v_cmp_eq_u64_e64 s0, 0, v[2:3]
	v_cmpx_ne_u64_e32 0, v[2:3]
	s_cbranch_execz .LBB0_19
; %bb.18:
	v_add_co_u32 v0, vcc_lo, v0, -1
	v_add_co_ci_u32_e32 v1, vcc_lo, -1, v1, vcc_lo
	s_delay_alu instid0(VALU_DEP_4) | instskip(NEXT) | instid1(VALU_DEP_2)
	s_and_not1_b32 s0, s0, exec_lo
	v_and_b32_e32 v0, s2, v0
	s_mov_b32 s6, exec_lo
	s_delay_alu instid0(VALU_DEP_2) | instskip(SKIP_1) | instid1(VALU_DEP_2)
	v_and_b32_e32 v1, s3, v1
	s_mov_b32 s7, 0
	v_bcnt_u32_b32 v0, v0, 0
	s_delay_alu instid0(VALU_DEP_1) | instskip(NEXT) | instid1(VALU_DEP_1)
	v_bcnt_u32_b32 v0, v1, v0
	v_cmp_ne_u32_e32 vcc_lo, s41, v0
	s_and_b32 s8, vcc_lo, exec_lo
	s_delay_alu instid0(SALU_CYCLE_1)
	s_or_b32 s0, s0, s8
.LBB0_19:
	s_or_b32 exec_lo, exec_lo, s1
	v_mov_b32_e32 v0, s7
	v_mov_b32_e32 v2, v9
	s_and_saveexec_b32 s7, s0
	s_cbranch_execz .LBB0_29
; %bb.20:
	v_add_nc_u32_e32 v2, 32, v9
	s_delay_alu instid0(VALU_DEP_1) | instskip(NEXT) | instid1(VALU_DEP_1)
	v_lshlrev_b64 v[0:1], v2, 1
	v_and_b32_e32 v4, s3, v1
	s_delay_alu instid0(VALU_DEP_2) | instskip(NEXT) | instid1(VALU_DEP_1)
	v_and_b32_e32 v3, s2, v0
	v_cmp_eq_u64_e64 s1, 0, v[3:4]
	v_cmp_ne_u64_e32 vcc_lo, 0, v[3:4]
	v_add_co_u32 v3, s0, v0, -1
	s_delay_alu instid0(VALU_DEP_1)
	v_add_co_ci_u32_e64 v4, s0, -1, v1, s0
	s_and_saveexec_b32 s0, vcc_lo
	s_cbranch_execz .LBB0_24
; %bb.21:
	s_delay_alu instid0(VALU_DEP_2) | instskip(NEXT) | instid1(VALU_DEP_2)
	v_and_b32_e32 v5, s2, v3
	v_and_b32_e32 v6, s3, v4
	s_mov_b32 s8, -1
	s_mov_b32 s9, exec_lo
	s_delay_alu instid0(VALU_DEP_2) | instskip(NEXT) | instid1(VALU_DEP_1)
	v_bcnt_u32_b32 v5, v5, 0
	v_bcnt_u32_b32 v6, v6, v5
	v_mov_b32_e32 v5, 0
	s_delay_alu instid0(VALU_DEP_2)
	v_cmpx_eq_u32_e64 s41, v6
	s_cbranch_execz .LBB0_23
; %bb.22:
	s_xor_b32 s8, exec_lo, -1
	ds_store_b32 v5, v2 offset:16560
.LBB0_23:
	s_or_b32 exec_lo, exec_lo, s9
	s_delay_alu instid0(SALU_CYCLE_1) | instskip(SKIP_1) | instid1(SALU_CYCLE_1)
	s_and_not1_b32 s1, s1, exec_lo
	s_and_b32 s8, s8, exec_lo
	s_or_b32 s1, s1, s8
.LBB0_24:
	s_or_b32 exec_lo, exec_lo, s0
	s_mov_b32 s0, 0
                                        ; implicit-def: $sgpr9
	s_and_saveexec_b32 s8, s1
	s_cbranch_execz .LBB0_28
; %bb.25:
	s_load_b64 s[0:1], s[36:37], 0x10
	s_mov_b32 s11, 0
	s_mov_b32 s10, exec_lo
                                        ; implicit-def: $sgpr9
	s_waitcnt lgkmcnt(0)
	v_and_b32_e32 v1, s1, v1
	v_and_b32_e32 v0, s0, v0
	s_delay_alu instid0(VALU_DEP_1)
	v_cmpx_ne_u64_e32 0, v[0:1]
	s_xor_b32 s10, exec_lo, s10
; %bb.26:
	v_and_b32_e32 v0, s0, v3
	v_and_b32_e32 v1, s1, v4
	s_bcnt1_i32_b64 s9, s[2:3]
	s_delay_alu instid0(VALU_DEP_2) | instskip(NEXT) | instid1(VALU_DEP_1)
	v_bcnt_u32_b32 v0, v0, 0
	v_bcnt_u32_b32 v0, v1, v0
	s_delay_alu instid0(VALU_DEP_1) | instskip(NEXT) | instid1(VALU_DEP_1)
	v_add_nc_u32_e32 v0, s9, v0
	v_cmp_eq_u32_e32 vcc_lo, s41, v0
	s_and_b32 s11, vcc_lo, exec_lo
; %bb.27:
	s_or_b32 exec_lo, exec_lo, s10
	s_delay_alu instid0(SALU_CYCLE_1)
	s_and_b32 s0, s11, exec_lo
.LBB0_28:
	s_or_b32 exec_lo, exec_lo, s8
	v_mov_b32_e32 v0, s9
	s_and_not1_b32 s1, s6, exec_lo
	s_and_b32 s0, s0, exec_lo
	s_delay_alu instid0(SALU_CYCLE_1)
	s_or_b32 s6, s1, s0
.LBB0_29:
	s_or_b32 exec_lo, exec_lo, s7
	s_and_saveexec_b32 s0, s6
	s_cbranch_execz .LBB0_31
; %bb.30:
	v_dual_mov_b32 v1, 0 :: v_dual_add_nc_u32 v0, v0, v2
	ds_store_b32 v1, v0 offset:16560
.LBB0_31:
	s_or_b32 exec_lo, exec_lo, s0
.LBB0_32:
	s_delay_alu instid0(SALU_CYCLE_1)
	s_or_b32 exec_lo, exec_lo, s5
	v_cmp_eq_u32_e64 s42, 0, v9
	s_waitcnt lgkmcnt(0)
	s_barrier
	buffer_gl0_inv
	s_and_saveexec_b32 s0, s42
	s_cbranch_execz .LBB0_34
; %bb.33:
	v_mov_b32_e32 v2, 0
	ds_load_b32 v3, v2 offset:16560
	ds_load_b64 v[0:1], v2 offset:16512
	s_waitcnt lgkmcnt(1)
	v_mul_lo_u32 v4, 0x180, v3
	v_mul_hi_i32 v3, 0x180, v3
	s_waitcnt lgkmcnt(0)
	s_delay_alu instid0(VALU_DEP_2) | instskip(NEXT) | instid1(VALU_DEP_2)
	v_add_co_u32 v0, vcc_lo, v0, v4
	v_add_co_ci_u32_e32 v1, vcc_lo, v1, v3, vcc_lo
	flat_load_b64 v[0:1], v[0:1] offset:464
	ds_store_b32 v2, v2 offset:16564
	s_waitcnt vmcnt(0) lgkmcnt(1)
	ds_store_b64 v2, v[0:1] offset:17040
.LBB0_34:
	s_or_b32 exec_lo, exec_lo, s0
	s_and_b32 s44, 0xffff, s4
	s_mov_b32 s0, 0
                                        ; implicit-def: $vgpr0_vgpr1
                                        ; implicit-def: $vgpr2
	s_mov_b32 s1, exec_lo
	v_cmpx_lt_i32_e32 0, v10
	s_xor_b32 s6, exec_lo, s1
	s_cbranch_execz .LBB0_66
; %bb.35:
	s_mov_b32 s0, exec_lo
	v_cmpx_ne_u32_e32 1, v10
	s_xor_b32 s7, exec_lo, s0
	s_cbranch_execz .LBB0_70
; %bb.36:
	v_subrev_nc_u32_e32 v17, 64, v9
	v_mul_u32_u24_e32 v12, 0x810, v10
	v_mov_b32_e32 v16, 0
	s_sub_i32 s8, s44, 64
	s_add_u32 s9, s36, 48
	v_lshrrev_b16 v0, 11, v17
	s_addc_u32 s10, s37, 0
	s_mov_b32 s11, 0
	s_mov_b32 s2, s41
	s_delay_alu instid0(VALU_DEP_1) | instskip(NEXT) | instid1(VALU_DEP_1)
	v_add_nc_u16 v0, v17, v0
	v_and_b32_e32 v0, 0xffffffe0, v0
	s_delay_alu instid0(VALU_DEP_1) | instskip(NEXT) | instid1(VALU_DEP_1)
	v_sub_nc_u16 v11, v17, v0
	v_and_b32_e32 v0, 0xffff, v11
	v_add_nc_u16 v13, v11, 32
	s_delay_alu instid0(VALU_DEP_2)
	v_lshlrev_b32_e64 v14, v0, 1
	v_bfm_b32 v15, v0, 0
                                        ; implicit-def: $vgpr0_vgpr1_vgpr2_vgpr3
	s_branch .LBB0_39
.LBB0_37:                               ;   in Loop: Header=BB0_39 Depth=1
	s_or_b32 exec_lo, exec_lo, s5
	v_mov_b32_e32 v4, v17
	s_mov_b32 s5, s2
.LBB0_38:                               ;   in Loop: Header=BB0_39 Depth=1
	s_delay_alu instid0(VALU_DEP_1)
	v_mov_b32_e32 v17, v4
	s_and_b32 vcc_lo, exec_lo, s1
	s_mov_b32 s2, s5
	s_cbranch_vccnz .LBB0_70
.LBB0_39:                               ; =>This Inner Loop Header: Depth=1
	s_ashr_i32 s3, s2, 31
	s_delay_alu instid0(SALU_CYCLE_1)
	s_lshl_b64 s[0:1], s[2:3], 4
	s_mov_b32 s3, exec_lo
	s_add_u32 s4, s9, s0
	s_addc_u32 s5, s10, s1
	s_load_b64 s[0:1], s[4:5], 0x8
	s_waitcnt lgkmcnt(0)
	v_and_b32_e32 v4, s0, v14
	s_delay_alu instid0(VALU_DEP_1)
	v_cmpx_ne_u32_e32 0, v4
	s_cbranch_execz .LBB0_41
; %bb.40:                               ;   in Loop: Header=BB0_39 Depth=1
	v_and_b32_e32 v4, s0, v15
	s_delay_alu instid0(VALU_DEP_1)
	v_bcnt_u32_b32 v4, v4, v12
	ds_store_b8 v4, v11
.LBB0_41:                               ;   in Loop: Header=BB0_39 Depth=1
	s_or_b32 exec_lo, exec_lo, s3
	s_load_b64 s[4:5], s[4:5], 0x0
	v_and_b32_e32 v4, s1, v14
	s_bcnt1_i32_b32 s0, s0
	s_mov_b32 s3, exec_lo
	s_delay_alu instid0(VALU_DEP_1)
	v_cmpx_ne_u32_e32 0, v4
	s_cbranch_execz .LBB0_43
; %bb.42:                               ;   in Loop: Header=BB0_39 Depth=1
	v_and_b32_e32 v4, s1, v15
	s_delay_alu instid0(VALU_DEP_1) | instskip(NEXT) | instid1(VALU_DEP_1)
	v_bcnt_u32_b32 v4, v4, 0
	v_add3_u32 v4, v12, s0, v4
	ds_store_b8 v4, v13
.LBB0_43:                               ;   in Loop: Header=BB0_39 Depth=1
	s_or_b32 exec_lo, exec_lo, s3
	s_bcnt1_i32_b32 s12, s1
	s_waitcnt lgkmcnt(0)
	s_bfe_u32 s3, s4, 0x2000f
	s_add_i32 s12, s12, s0
	s_cmp_lt_i32 s3, 1
	s_cbranch_scc1 .LBB0_46
; %bb.44:                               ;   in Loop: Header=BB0_39 Depth=1
	s_cmp_lg_u32 s3, 1
	s_cbranch_scc0 .LBB0_47
; %bb.45:                               ;   in Loop: Header=BB0_39 Depth=1
	v_mul_u32_u24_e64 v4, s12, 20
	s_mov_b32 s1, 20
	s_movk_i32 s13, 0x140
	s_cbranch_execz .LBB0_48
	s_branch .LBB0_49
.LBB0_46:                               ;   in Loop: Header=BB0_39 Depth=1
                                        ; implicit-def: $vgpr4
                                        ; implicit-def: $sgpr13
                                        ; implicit-def: $sgpr1
	s_branch .LBB0_50
.LBB0_47:                               ;   in Loop: Header=BB0_39 Depth=1
                                        ; implicit-def: $vgpr4
                                        ; implicit-def: $sgpr13
                                        ; implicit-def: $sgpr1
.LBB0_48:                               ;   in Loop: Header=BB0_39 Depth=1
	s_lshl_b32 s0, s12, 3
	s_mov_b32 s1, 8
	v_mov_b32_e32 v4, s0
	s_movk_i32 s13, 0x80
.LBB0_49:                               ;   in Loop: Header=BB0_39 Depth=1
	s_cbranch_execnz .LBB0_51
.LBB0_50:                               ;   in Loop: Header=BB0_39 Depth=1
	s_lshl_b32 s0, s12, 2
	s_mov_b32 s13, 64
	v_mov_b32_e32 v4, s0
	s_mov_b32 s1, 4
.LBB0_51:                               ;   in Loop: Header=BB0_39 Depth=1
	v_cmp_eq_u32_e64 s0, 0, v17
	s_delay_alu instid0(VALU_DEP_1)
	s_and_saveexec_b32 s14, s0
	s_cbranch_execz .LBB0_53
; %bb.52:                               ;   in Loop: Header=BB0_39 Depth=1
	v_mov_b32_e32 v5, s13
	ds_store_b32 v16, v5 offset:17072
	s_or_b32 exec_lo, exec_lo, s14
	s_delay_alu instid0(SALU_CYCLE_1)
	s_mov_b32 s14, exec_lo
	v_cmpx_lt_i32_e64 v17, v4
	s_cbranch_execz .LBB0_61
	s_branch .LBB0_54
.LBB0_53:                               ;   in Loop: Header=BB0_39 Depth=1
	s_or_b32 exec_lo, exec_lo, s14
	s_delay_alu instid0(SALU_CYCLE_1)
	s_mov_b32 s14, exec_lo
	v_cmpx_lt_i32_e64 v17, v4
	s_cbranch_execz .LBB0_61
.LBB0_54:                               ;   in Loop: Header=BB0_39 Depth=1
	v_cvt_f32_u32_e32 v4, s1
	s_sub_i32 s15, 0, s1
	v_sub_nc_u32_e32 v6, 0, v17
	s_delay_alu instid0(VALU_DEP_2) | instskip(NEXT) | instid1(VALU_DEP_1)
	v_rcp_iflag_f32_e32 v4, v4
	v_max_i32_e32 v6, v17, v6
	s_waitcnt_depctr 0xfff
	v_mul_f32_e32 v4, 0x4f7ffffe, v4
	s_delay_alu instid0(VALU_DEP_1) | instskip(NEXT) | instid1(VALU_DEP_1)
	v_cvt_u32_f32_e32 v4, v4
	v_mul_lo_u32 v5, s15, v4
	s_delay_alu instid0(VALU_DEP_1) | instskip(NEXT) | instid1(VALU_DEP_1)
	v_mul_hi_u32 v5, v4, v5
	v_add_nc_u32_e32 v4, v4, v5
	s_delay_alu instid0(VALU_DEP_1) | instskip(NEXT) | instid1(VALU_DEP_1)
	v_mul_hi_u32 v4, v6, v4
	v_mul_lo_u32 v5, v4, s1
	s_delay_alu instid0(VALU_DEP_1) | instskip(SKIP_1) | instid1(VALU_DEP_2)
	v_sub_nc_u32_e32 v5, v6, v5
	v_add_nc_u32_e32 v6, 1, v4
	v_subrev_nc_u32_e32 v7, s1, v5
	v_cmp_le_u32_e32 vcc_lo, s1, v5
	s_delay_alu instid0(VALU_DEP_2) | instskip(SKIP_1) | instid1(VALU_DEP_2)
	v_dual_cndmask_b32 v5, v5, v7 :: v_dual_cndmask_b32 v4, v4, v6
	v_ashrrev_i32_e32 v7, 31, v17
	v_cmp_le_u32_e32 vcc_lo, s1, v5
	s_delay_alu instid0(VALU_DEP_3) | instskip(SKIP_2) | instid1(VALU_DEP_1)
	v_add_nc_u32_e32 v6, 1, v4
	ds_load_u8 v5, v16 offset:16536
	v_cndmask_b32_e32 v4, v4, v6, vcc_lo
	v_xor_b32_e32 v4, v4, v7
	s_delay_alu instid0(VALU_DEP_1) | instskip(NEXT) | instid1(VALU_DEP_1)
	v_sub_nc_u32_e32 v18, v4, v7
	v_add_nc_u32_e32 v4, v12, v18
	v_mul_lo_u32 v6, v18, s1
	ds_load_u8 v4, v4
	s_waitcnt lgkmcnt(1)
	v_cmp_ne_u16_e64 s1, 0, v5
	v_sub_nc_u32_e32 v19, v17, v6
	s_delay_alu instid0(VALU_DEP_2)
	s_and_b32 vcc_lo, exec_lo, s1
	s_cbranch_vccz .LBB0_57
; %bb.55:                               ;   in Loop: Header=BB0_39 Depth=1
	s_and_b32 vcc_lo, exec_lo, s1
	s_cbranch_vccz .LBB0_58
.LBB0_56:                               ;   in Loop: Header=BB0_39 Depth=1
	ds_load_b32 v7, v16 offset:16540
	ds_load_b64 v[5:6], v16 offset:16544
	s_waitcnt lgkmcnt(2)
	v_mul_u32_u24_e32 v4, s13, v4
	v_lshlrev_b32_e32 v8, 4, v19
	s_delay_alu instid0(VALU_DEP_1) | instskip(SKIP_1) | instid1(VALU_DEP_1)
	v_add3_u32 v4, v8, s5, v4
	s_waitcnt lgkmcnt(1)
	v_and_b32_e32 v4, v7, v4
	s_waitcnt lgkmcnt(0)
	s_delay_alu instid0(VALU_DEP_1)
	v_add_co_u32 v4, vcc_lo, v5, v4
	v_add_co_ci_u32_e32 v5, vcc_lo, 0, v6, vcc_lo
	flat_load_b128 v[4:7], v[4:5]
	s_cbranch_execz .LBB0_59
	s_branch .LBB0_60
.LBB0_57:                               ;   in Loop: Header=BB0_39 Depth=1
	s_waitcnt lgkmcnt(0)
	v_mul_u32_u24_e32 v0, s13, v4
	v_lshlrev_b32_e32 v1, 4, v19
	s_delay_alu instid0(VALU_DEP_1)
	v_add3_u32 v0, v1, s5, v0
	global_load_b128 v[0:3], v0, s[36:37]
	s_and_b32 vcc_lo, exec_lo, s1
	s_cbranch_vccnz .LBB0_56
.LBB0_58:                               ;   in Loop: Header=BB0_39 Depth=1
                                        ; implicit-def: $vgpr4_vgpr5_vgpr6_vgpr7
                                        ; implicit-def: $vgpr8
.LBB0_59:                               ;   in Loop: Header=BB0_39 Depth=1
	s_waitcnt vmcnt(0) lgkmcnt(0)
	v_dual_mov_b32 v7, v3 :: v_dual_lshlrev_b32 v8, 4, v19
	v_dual_mov_b32 v6, v2 :: v_dual_mov_b32 v5, v1
	v_mov_b32_e32 v4, v0
.LBB0_60:                               ;   in Loop: Header=BB0_39 Depth=1
	s_waitcnt vmcnt(0)
	v_add_nc_u32_e32 v0, s11, v18
	s_delay_alu instid0(VALU_DEP_1)
	v_mad_u64_u32 v[18:19], null, v0, s13, v[8:9]
	s_waitcnt lgkmcnt(0)
	v_dual_mov_b32 v0, v4 :: v_dual_mov_b32 v3, v7
	v_dual_mov_b32 v1, v5 :: v_dual_mov_b32 v2, v6
	ds_store_b128 v18, v[4:7] offset:20176
.LBB0_61:                               ;   in Loop: Header=BB0_39 Depth=1
	s_or_b32 exec_lo, exec_lo, s14
	s_bitcmp0_b32 s4, 14
	s_cselect_b32 s1, -1, 0
	s_delay_alu instid0(SALU_CYCLE_1)
	s_and_b32 vcc_lo, exec_lo, s1
	s_cbranch_vccnz .LBB0_63
; %bb.62:                               ;   in Loop: Header=BB0_39 Depth=1
	v_cmp_gt_i32_e32 vcc_lo, 64, v17
	s_and_b32 s5, s4, 0x3fff
	s_delay_alu instid0(SALU_CYCLE_1) | instskip(SKIP_1) | instid1(VALU_DEP_1)
	s_add_i32 s5, s5, s2
	v_cndmask_b32_e64 v4, 0, s8, vcc_lo
	v_add3_u32 v4, v17, v4, 0xffffffc0
	s_add_i32 s11, s12, s11
	s_cbranch_execnz .LBB0_38
	s_branch .LBB0_64
.LBB0_63:                               ;   in Loop: Header=BB0_39 Depth=1
                                        ; implicit-def: $vgpr4
                                        ; implicit-def: $sgpr5
	s_add_i32 s11, s12, s11
.LBB0_64:                               ;   in Loop: Header=BB0_39 Depth=1
	s_and_saveexec_b32 s5, s0
	s_cbranch_execz .LBB0_37
; %bb.65:                               ;   in Loop: Header=BB0_39 Depth=1
	s_and_b32 s0, s4, 0x3fff
	v_dual_mov_b32 v6, s3 :: v_dual_mov_b32 v7, s11
	s_add_i32 s12, s0, s2
	s_cmp_lg_u32 s0, 0
	v_mov_b32_e32 v17, 0
	s_cselect_b32 s0, s12, -1
	s_delay_alu instid0(SALU_CYCLE_1) | instskip(SKIP_1) | instid1(SALU_CYCLE_1)
	v_dual_mov_b32 v4, s2 :: v_dual_mov_b32 v5, s0
	s_lshr_b32 s0, s4, 17
	v_mov_b32_e32 v8, s0
	ds_store_b64 v16, v[4:5] offset:17056
	ds_store_b8 v16, v6 offset:17064
	ds_store_b32 v16, v7 offset:17068
	ds_store_b16 v16, v8 offset:17066
	s_branch .LBB0_37
.LBB0_66:
	s_and_not1_saveexec_b32 s1, s6
	s_cbranch_execz .LBB0_75
.LBB0_67:
	s_mov_b32 s3, s0
	s_mov_b32 s2, exec_lo
                                        ; implicit-def: $vgpr0_vgpr1
                                        ; implicit-def: $vgpr2
	v_cmpx_gt_u32_e32 6, v9
	s_cbranch_execz .LBB0_69
; %bb.68:
	v_mov_b32_e32 v0, 0
	v_lshlrev_b32_e32 v2, 4, v9
	s_or_b32 s3, s0, exec_lo
	ds_load_b64 v[0:1], v0 offset:16512
	s_waitcnt lgkmcnt(0)
	v_add_co_u32 v0, vcc_lo, v0, v2
	v_add_co_ci_u32_e32 v1, vcc_lo, 0, v1, vcc_lo
	v_add_nc_u32_e32 v2, 0x40c0, v2
.LBB0_69:
	s_or_b32 exec_lo, exec_lo, s2
	s_delay_alu instid0(SALU_CYCLE_1) | instskip(SKIP_1) | instid1(SALU_CYCLE_1)
	s_and_not1_b32 s0, s0, exec_lo
	s_and_b32 s2, s3, exec_lo
	s_or_b32 s0, s0, s2
	s_or_b32 exec_lo, exec_lo, s1
	s_and_saveexec_b32 s1, s0
	s_cbranch_execnz .LBB0_76
	s_branch .LBB0_77
.LBB0_70:
	s_or_saveexec_b32 s0, s7
	s_mov_b32 s1, 0
                                        ; implicit-def: $vgpr0_vgpr1
                                        ; implicit-def: $vgpr2
	s_xor_b32 exec_lo, exec_lo, s0
	s_cbranch_execz .LBB0_74
; %bb.71:
	s_mov_b32 s2, exec_lo
                                        ; implicit-def: $vgpr0_vgpr1
                                        ; implicit-def: $vgpr2
	v_cmpx_gt_u32_e32 56, v9
	s_xor_b32 s2, exec_lo, s2
	s_cbranch_execz .LBB0_73
; %bb.72:
	v_lshlrev_b32_e32 v4, 4, v9
	v_mov_b32_e32 v0, 0
	s_mov_b32 s1, exec_lo
	s_delay_alu instid0(VALU_DEP_2)
	v_add_nc_u32_e32 v5, 0xfffffe00, v4
	ds_load_b32 v2, v0 offset:16560
	ds_load_b64 v[0:1], v0 offset:16512
	s_waitcnt lgkmcnt(1)
	v_mul_lo_u32 v3, 0x180, v2
	v_mul_hi_i32 v2, 0x180, v2
	s_waitcnt lgkmcnt(0)
	s_delay_alu instid0(VALU_DEP_2) | instskip(NEXT) | instid1(VALU_DEP_2)
	v_add_co_u32 v0, vcc_lo, v0, v3
	v_add_co_ci_u32_e32 v1, vcc_lo, v1, v2, vcc_lo
	v_ashrrev_i32_e32 v2, 31, v5
	s_delay_alu instid0(VALU_DEP_3) | instskip(NEXT) | instid1(VALU_DEP_3)
	v_add_co_u32 v0, vcc_lo, 0x60, v0
	v_add_co_ci_u32_e32 v1, vcc_lo, 0, v1, vcc_lo
	s_delay_alu instid0(VALU_DEP_2) | instskip(NEXT) | instid1(VALU_DEP_2)
	v_add_co_u32 v0, vcc_lo, v0, v5
	v_add_co_ci_u32_e32 v1, vcc_lo, v1, v2, vcc_lo
	v_add_nc_u32_e32 v2, 0x3f20, v4
.LBB0_73:
	s_or_b32 exec_lo, exec_lo, s2
	s_delay_alu instid0(SALU_CYCLE_1)
	s_and_b32 s1, s1, exec_lo
.LBB0_74:
	s_or_b32 exec_lo, exec_lo, s0
	s_delay_alu instid0(SALU_CYCLE_1)
	s_and_b32 s0, s1, exec_lo
	s_and_not1_saveexec_b32 s1, s6
	s_cbranch_execnz .LBB0_67
.LBB0_75:
	s_or_b32 exec_lo, exec_lo, s1
	s_and_saveexec_b32 s1, s0
	s_cbranch_execz .LBB0_77
.LBB0_76:
	flat_load_b64 v[3:4], v[0:1]
	s_waitcnt vmcnt(0) lgkmcnt(0)
	ds_store_b64 v2, v[3:4]
	flat_load_b64 v[0:1], v[0:1] offset:8
	s_waitcnt vmcnt(0) lgkmcnt(0)
	ds_store_b64 v2, v[0:1] offset:8
.LBB0_77:
	s_or_b32 exec_lo, exec_lo, s1
	v_mov_b32_e32 v41, 0
	s_waitcnt lgkmcnt(0)
	s_barrier
	buffer_gl0_inv
	ds_load_b32 v0, v41 offset:16564
	s_waitcnt lgkmcnt(0)
	v_cmp_ne_u32_e32 vcc_lo, 0, v0
	s_cbranch_vccz .LBB0_90
.LBB0_78:
	s_and_saveexec_b32 s0, s42
	s_cbranch_execz .LBB0_89
; %bb.79:
	v_mov_b32_e32 v6, 0
	ds_load_b32 v7, v6 offset:17068
	ds_load_b64 v[2:3], v6 offset:17040
	s_waitcnt lgkmcnt(1)
	v_ashrrev_i32_e32 v5, 31, v7
	s_waitcnt lgkmcnt(0)
	v_add_co_u32 v0, vcc_lo, v2, 1
	v_add_co_ci_u32_e32 v1, vcc_lo, 0, v3, vcc_lo
	v_add_co_u32 v4, vcc_lo, v2, v7
	v_add_co_ci_u32_e32 v5, vcc_lo, v3, v5, vcc_lo
	s_delay_alu instid0(VALU_DEP_1)
	v_cmp_gt_u64_e32 vcc_lo, v[0:1], v[4:5]
	s_cbranch_vccnz .LBB0_88
; %bb.80:
	ds_load_u8 v8, v6 offset:17064
	s_movk_i32 s0, 0x4f0e
	s_movk_i32 s1, 0x4eda
	s_branch .LBB0_82
.LBB0_81:                               ;   in Loop: Header=BB0_82 Depth=1
	s_waitcnt lgkmcnt(0)
	v_ashrrev_i32_e32 v5, 31, v7
	v_add_co_u32 v0, vcc_lo, v0, 1
	v_add_co_ci_u32_e32 v1, vcc_lo, 0, v1, vcc_lo
	v_add_co_u32 v4, vcc_lo, v2, v7
	s_delay_alu instid0(VALU_DEP_4) | instskip(SKIP_2) | instid1(VALU_DEP_1)
	v_add_co_ci_u32_e32 v5, vcc_lo, v3, v5, vcc_lo
	s_add_i32 s0, s0, 64
	s_addk_i32 s1, 0x80
	v_cmp_le_u64_e32 vcc_lo, v[0:1], v[4:5]
	s_cbranch_vccz .LBB0_88
.LBB0_82:                               ; =>This Inner Loop Header: Depth=1
	s_waitcnt lgkmcnt(0)
	v_and_b32_e32 v4, 0xff, v8
	s_delay_alu instid0(VALU_DEP_1)
	v_cmp_ne_u16_e32 vcc_lo, 0, v4
	s_cbranch_vccz .LBB0_87
; %bb.83:                               ;   in Loop: Header=BB0_82 Depth=1
	v_mov_b32_e32 v4, s1
	ds_load_u8 v4, v4
	s_waitcnt lgkmcnt(0)
	v_and_b32_e32 v4, 1, v4
	s_cbranch_execnz .LBB0_85
.LBB0_84:                               ;   in Loop: Header=BB0_82 Depth=1
	v_mov_b32_e32 v4, s0
	ds_load_u16 v4, v4
	s_waitcnt lgkmcnt(0)
	v_bfe_u32 v4, v4, 6, 1
.LBB0_85:                               ;   in Loop: Header=BB0_82 Depth=1
	s_delay_alu instid0(VALU_DEP_1)
	v_cmp_eq_u32_e32 vcc_lo, 0, v4
	s_cbranch_vccnz .LBB0_81
; %bb.86:                               ;   in Loop: Header=BB0_82 Depth=1
	s_sendmsg_rtn_b64 s[2:3], sendmsg(MSG_RTN_GET_REALTIME)
	ds_load_u8 v8, v6 offset:17064
	ds_load_b32 v2, v6 offset:16560
	ds_load_b64 v[4:5], v6 offset:16664
	v_and_b32_e32 v7, 63, v0
	s_waitcnt lgkmcnt(0)
	v_ashrrev_i32_e32 v3, 31, v2
	s_delay_alu instid0(VALU_DEP_1) | instskip(NEXT) | instid1(VALU_DEP_3)
	v_lshlrev_b64 v[9:10], 10, v[2:3]
	v_dual_mov_b32 v2, s2 :: v_dual_lshlrev_b32 v7, 4, v7
	v_mov_b32_e32 v3, s3
	s_delay_alu instid0(VALU_DEP_3) | instskip(NEXT) | instid1(VALU_DEP_4)
	v_add_co_u32 v4, vcc_lo, v4, v9
	v_add_co_ci_u32_e32 v5, vcc_lo, v5, v10, vcc_lo
	s_delay_alu instid0(VALU_DEP_2) | instskip(NEXT) | instid1(VALU_DEP_2)
	v_add_co_u32 v4, vcc_lo, v4, v7
	v_add_co_ci_u32_e32 v5, vcc_lo, 0, v5, vcc_lo
	flat_store_b128 v[4:5], v[0:3]
	ds_load_b64 v[2:3], v6 offset:17040
	ds_load_b32 v7, v6 offset:17068
	s_branch .LBB0_81
.LBB0_87:                               ;   in Loop: Header=BB0_82 Depth=1
                                        ; implicit-def: $vgpr4
	s_branch .LBB0_84
.LBB0_88:
	v_mov_b32_e32 v2, 0
	ds_load_b32 v3, v2 offset:16560
	ds_load_b64 v[0:1], v2 offset:16512
	ds_store_b64 v2, v[4:5] offset:17040
	s_waitcnt lgkmcnt(2)
	v_mul_lo_u32 v6, 0x180, v3
	v_mul_hi_i32 v3, 0x180, v3
	s_waitcnt lgkmcnt(1)
	s_delay_alu instid0(VALU_DEP_2) | instskip(NEXT) | instid1(VALU_DEP_2)
	v_add_co_u32 v0, vcc_lo, v0, v6
	v_add_co_ci_u32_e32 v1, vcc_lo, v1, v3, vcc_lo
	flat_store_b64 v[0:1], v[4:5] offset:464
.LBB0_89:
	s_endpgm
.LBB0_90:
	v_and_b32_e32 v43, 31, v9
	v_cmp_eq_u32_e32 vcc_lo, 1, v10
	v_cmp_gt_u32_e64 s0, 40, v9
	s_movk_i32 s1, 0x160
	v_cmp_eq_u32_e64 s43, 32, v9
	v_mad_u32_u24 v44, v9, s1, 0x17d8
	v_mul_u32_u24_e32 v45, 0x810, v10
	v_lshlrev_b32_e64 v46, v9, 1
	v_bfm_b32 v47, v43, 0
	v_or_b32_e32 v56, 32, v43
	s_and_b32 s45, s0, vcc_lo
	s_add_u32 s46, s36, 48
	s_addc_u32 s47, s37, 0
	s_branch .LBB0_92
.LBB0_91:                               ;   in Loop: Header=BB0_92 Depth=1
	s_waitcnt lgkmcnt(0)
	s_waitcnt_vscnt null, 0x0
	s_barrier
	buffer_gl0_inv
	ds_load_b32 v0, v41 offset:16564
	s_waitcnt lgkmcnt(0)
	v_cmp_ne_u32_e64 s0, 0, v0
	s_delay_alu instid0(VALU_DEP_1)
	s_and_b32 vcc_lo, exec_lo, s0
	s_cbranch_vccnz .LBB0_78
.LBB0_92:                               ; =>This Loop Header: Depth=1
                                        ;     Child Loop BB0_96 Depth 2
                                        ;     Child Loop BB0_587 Depth 2
	;; [unrolled: 1-line block ×3, first 2 shown]
	s_and_saveexec_b32 s0, s42
	s_cbranch_execz .LBB0_102
; %bb.93:                               ;   in Loop: Header=BB0_92 Depth=1
	ds_load_b32 v4, v41 offset:17068
	ds_load_b64 v[2:3], v41 offset:17040
	s_waitcnt lgkmcnt(1)
	v_ashrrev_i32_e32 v6, 31, v4
	s_waitcnt lgkmcnt(0)
	v_add_co_u32 v0, vcc_lo, v2, 1
	v_add_co_ci_u32_e32 v1, vcc_lo, 0, v3, vcc_lo
	v_add_co_u32 v5, vcc_lo, v2, v4
	v_add_co_ci_u32_e32 v6, vcc_lo, v3, v6, vcc_lo
	s_delay_alu instid0(VALU_DEP_1)
	v_cmp_gt_u64_e32 vcc_lo, v[0:1], v[5:6]
	s_cbranch_vccnz .LBB0_102
; %bb.94:                               ;   in Loop: Header=BB0_92 Depth=1
	ds_load_u8 v5, v41 offset:17064
	s_movk_i32 s1, 0x4f0e
	s_movk_i32 s2, 0x4eda
	s_branch .LBB0_96
.LBB0_95:                               ;   in Loop: Header=BB0_96 Depth=2
	s_waitcnt lgkmcnt(0)
	v_ashrrev_i32_e32 v7, 31, v4
	v_add_co_u32 v0, vcc_lo, v0, 1
	v_add_co_ci_u32_e32 v1, vcc_lo, 0, v1, vcc_lo
	v_add_co_u32 v6, vcc_lo, v2, v4
	s_delay_alu instid0(VALU_DEP_4) | instskip(SKIP_2) | instid1(VALU_DEP_1)
	v_add_co_ci_u32_e32 v7, vcc_lo, v3, v7, vcc_lo
	s_add_i32 s1, s1, 64
	s_addk_i32 s2, 0x80
	v_cmp_le_u64_e32 vcc_lo, v[0:1], v[6:7]
	s_cbranch_vccz .LBB0_102
.LBB0_96:                               ;   Parent Loop BB0_92 Depth=1
                                        ; =>  This Inner Loop Header: Depth=2
	s_waitcnt lgkmcnt(0)
	v_and_b32_e32 v6, 0xff, v5
	s_delay_alu instid0(VALU_DEP_1)
	v_cmp_ne_u16_e32 vcc_lo, 0, v6
	s_cbranch_vccz .LBB0_101
; %bb.97:                               ;   in Loop: Header=BB0_96 Depth=2
	v_mov_b32_e32 v6, s2
	ds_load_u8 v6, v6
	s_waitcnt lgkmcnt(0)
	v_and_b32_e32 v6, 1, v6
	s_cbranch_execnz .LBB0_99
.LBB0_98:                               ;   in Loop: Header=BB0_96 Depth=2
	v_mov_b32_e32 v6, s1
	ds_load_u16 v6, v6
	s_waitcnt lgkmcnt(0)
	v_bfe_u32 v6, v6, 6, 1
.LBB0_99:                               ;   in Loop: Header=BB0_96 Depth=2
	s_delay_alu instid0(VALU_DEP_1)
	v_cmp_eq_u32_e32 vcc_lo, 0, v6
	s_cbranch_vccnz .LBB0_95
; %bb.100:                              ;   in Loop: Header=BB0_96 Depth=2
	s_sendmsg_rtn_b64 s[4:5], sendmsg(MSG_RTN_GET_REALTIME)
	ds_load_u8 v5, v41 offset:17064
	ds_load_b32 v2, v41 offset:16560
	ds_load_b64 v[6:7], v41 offset:16656
	v_and_b32_e32 v8, 63, v0
	s_waitcnt lgkmcnt(0)
	v_ashrrev_i32_e32 v3, 31, v2
	s_delay_alu instid0(VALU_DEP_1) | instskip(SKIP_1) | instid1(VALU_DEP_2)
	v_lshlrev_b64 v[3:4], 10, v[2:3]
	v_mov_b32_e32 v2, s4
	v_add_co_u32 v6, vcc_lo, v6, v3
	v_dual_mov_b32 v3, s5 :: v_dual_lshlrev_b32 v8, 4, v8
	s_delay_alu instid0(VALU_DEP_4) | instskip(NEXT) | instid1(VALU_DEP_2)
	v_add_co_ci_u32_e32 v4, vcc_lo, v7, v4, vcc_lo
	v_add_co_u32 v6, vcc_lo, v6, v8
	s_delay_alu instid0(VALU_DEP_2)
	v_add_co_ci_u32_e32 v7, vcc_lo, 0, v4, vcc_lo
	flat_store_b128 v[6:7], v[0:3]
	ds_load_b64 v[2:3], v41 offset:17040
	ds_load_b32 v4, v41 offset:17068
	s_branch .LBB0_95
.LBB0_101:                              ;   in Loop: Header=BB0_96 Depth=2
                                        ; implicit-def: $vgpr6
	s_branch .LBB0_98
.LBB0_102:                              ;   in Loop: Header=BB0_92 Depth=1
	s_or_b32 exec_lo, exec_lo, s0
	ds_load_u16 v0, v41 offset:17066
	s_mov_b32 s0, -1
	s_waitcnt lgkmcnt(0)
	v_cmp_lt_u32_e32 vcc_lo, 0x58, v0
	v_readfirstlane_b32 s48, v0
	s_cbranch_vccz .LBB0_267
; %bb.103:                              ;   in Loop: Header=BB0_92 Depth=1
	s_delay_alu instid0(VALU_DEP_1)
	s_cmpk_gt_u32 s48, 0x85
	s_cbranch_scc0 .LBB0_182
; %bb.104:                              ;   in Loop: Header=BB0_92 Depth=1
	s_cmpk_gt_u32 s48, 0x9b
	s_cbranch_scc0 .LBB0_144
; %bb.105:                              ;   in Loop: Header=BB0_92 Depth=1
	;; [unrolled: 3-line block ×6, first 2 shown]
	v_mov_b32_e32 v31, v40
	s_add_u32 s8, s36, 0x1000
	s_addc_u32 s9, s37, 0
	s_mov_b64 s[4:5], s[38:39]
	s_mov_b64 s[10:11], s[34:35]
	s_mov_b32 s12, s41
	s_mov_b32 s13, s40
	;; [unrolled: 1-line block ×3, first 2 shown]
	s_getpc_b64 s[0:1]
	s_add_u32 s0, s0, _Z50ncclDevFunc_AlltoAllPivot_RING_SIMPLE_Sum_i8_0_0_1v@rel32@lo+4
	s_addc_u32 s1, s1, _Z50ncclDevFunc_AlltoAllPivot_RING_SIMPLE_Sum_i8_0_0_1v@rel32@hi+12
	s_delay_alu instid0(SALU_CYCLE_1)
	s_swappc_b64 s[30:31], s[0:1]
	s_mov_b32 s0, 0
.LBB0_110:                              ;   in Loop: Header=BB0_92 Depth=1
	s_delay_alu instid0(SALU_CYCLE_1)
	s_and_not1_b32 vcc_lo, exec_lo, s0
	s_cbranch_vccnz .LBB0_112
; %bb.111:                              ;   in Loop: Header=BB0_92 Depth=1
	v_mov_b32_e32 v31, v40
	s_add_u32 s8, s36, 0x1000
	s_addc_u32 s9, s37, 0
	s_mov_b64 s[4:5], s[38:39]
	s_mov_b64 s[10:11], s[34:35]
	s_mov_b32 s12, s41
	s_mov_b32 s13, s40
	;; [unrolled: 1-line block ×3, first 2 shown]
	s_getpc_b64 s[0:1]
	s_add_u32 s0, s0, _Z45ncclDevFunc_SendRecv_RING_SIMPLE_Sum_i8_0_0_1v@rel32@lo+4
	s_addc_u32 s1, s1, _Z45ncclDevFunc_SendRecv_RING_SIMPLE_Sum_i8_0_0_1v@rel32@hi+12
	s_delay_alu instid0(SALU_CYCLE_1)
	s_swappc_b64 s[30:31], s[0:1]
.LBB0_112:                              ;   in Loop: Header=BB0_92 Depth=1
	s_mov_b32 s0, 0
.LBB0_113:                              ;   in Loop: Header=BB0_92 Depth=1
	s_delay_alu instid0(SALU_CYCLE_1)
	s_and_not1_b32 vcc_lo, exec_lo, s0
	s_cbranch_vccnz .LBB0_118
; %bb.114:                              ;   in Loop: Header=BB0_92 Depth=1
	s_cmpk_lg_i32 s48, 0xad
	s_mov_b32 s0, -1
	s_cbranch_scc0 .LBB0_116
; %bb.115:                              ;   in Loop: Header=BB0_92 Depth=1
	v_mov_b32_e32 v31, v40
	s_add_u32 s8, s36, 0x1000
	s_addc_u32 s9, s37, 0
	s_mov_b64 s[4:5], s[38:39]
	s_mov_b64 s[10:11], s[34:35]
	s_mov_b32 s12, s41
	s_mov_b32 s13, s40
	;; [unrolled: 1-line block ×3, first 2 shown]
	s_getpc_b64 s[0:1]
	s_add_u32 s0, s0, _Z54ncclDevFunc_AllReduce_RING_SIMPLE_SumPostDiv_u64_0_0_1v@rel32@lo+4
	s_addc_u32 s1, s1, _Z54ncclDevFunc_AllReduce_RING_SIMPLE_SumPostDiv_u64_0_0_1v@rel32@hi+12
	s_delay_alu instid0(SALU_CYCLE_1)
	s_swappc_b64 s[30:31], s[0:1]
	s_mov_b32 s0, 0
.LBB0_116:                              ;   in Loop: Header=BB0_92 Depth=1
	s_delay_alu instid0(SALU_CYCLE_1)
	s_and_not1_b32 vcc_lo, exec_lo, s0
	s_cbranch_vccnz .LBB0_118
; %bb.117:                              ;   in Loop: Header=BB0_92 Depth=1
	v_mov_b32_e32 v31, v40
	s_add_u32 s8, s36, 0x1000
	s_addc_u32 s9, s37, 0
	s_mov_b64 s[4:5], s[38:39]
	s_mov_b64 s[10:11], s[34:35]
	s_mov_b32 s12, s41
	s_mov_b32 s13, s40
	;; [unrolled: 1-line block ×3, first 2 shown]
	s_getpc_b64 s[0:1]
	s_add_u32 s0, s0, _Z54ncclDevFunc_AllReduce_RING_SIMPLE_SumPostDiv_u32_0_0_1v@rel32@lo+4
	s_addc_u32 s1, s1, _Z54ncclDevFunc_AllReduce_RING_SIMPLE_SumPostDiv_u32_0_0_1v@rel32@hi+12
	s_delay_alu instid0(SALU_CYCLE_1)
	s_swappc_b64 s[30:31], s[0:1]
.LBB0_118:                              ;   in Loop: Header=BB0_92 Depth=1
	s_mov_b32 s0, 0
.LBB0_119:                              ;   in Loop: Header=BB0_92 Depth=1
	s_delay_alu instid0(SALU_CYCLE_1)
	s_and_not1_b32 vcc_lo, exec_lo, s0
	s_cbranch_vccnz .LBB0_127
; %bb.120:                              ;   in Loop: Header=BB0_92 Depth=1
	s_cmpk_gt_u32 s48, 0xa9
	s_mov_b32 s0, -1
	s_cbranch_scc0 .LBB0_122
; %bb.121:                              ;   in Loop: Header=BB0_92 Depth=1
	v_mov_b32_e32 v31, v40
	s_add_u32 s8, s36, 0x1000
	s_addc_u32 s9, s37, 0
	s_mov_b64 s[4:5], s[38:39]
	s_mov_b64 s[10:11], s[34:35]
	s_mov_b32 s12, s41
	s_mov_b32 s13, s40
	;; [unrolled: 1-line block ×3, first 2 shown]
	s_getpc_b64 s[0:1]
	s_add_u32 s0, s0, _Z53ncclDevFunc_AllReduce_RING_SIMPLE_SumPostDiv_u8_0_0_1v@rel32@lo+4
	s_addc_u32 s1, s1, _Z53ncclDevFunc_AllReduce_RING_SIMPLE_SumPostDiv_u8_0_0_1v@rel32@hi+12
	s_delay_alu instid0(SALU_CYCLE_1)
	s_swappc_b64 s[30:31], s[0:1]
	s_mov_b32 s0, 0
.LBB0_122:                              ;   in Loop: Header=BB0_92 Depth=1
	s_delay_alu instid0(SALU_CYCLE_1)
	s_and_not1_b32 vcc_lo, exec_lo, s0
	s_cbranch_vccnz .LBB0_127
; %bb.123:                              ;   in Loop: Header=BB0_92 Depth=1
	s_cmpk_lg_i32 s48, 0xa7
	s_mov_b32 s0, -1
	s_cbranch_scc0 .LBB0_125
; %bb.124:                              ;   in Loop: Header=BB0_92 Depth=1
	v_mov_b32_e32 v31, v40
	s_add_u32 s8, s36, 0x1000
	s_addc_u32 s9, s37, 0
	s_mov_b64 s[4:5], s[38:39]
	s_mov_b64 s[10:11], s[34:35]
	s_mov_b32 s12, s41
	s_mov_b32 s13, s40
	s_mov_b32 s14, s33
	s_getpc_b64 s[0:1]
	s_add_u32 s0, s0, _Z56ncclDevFunc_AllReduce_RING_SIMPLE_PreMulSum_f8e5m2_0_0_1v@rel32@lo+4
	s_addc_u32 s1, s1, _Z56ncclDevFunc_AllReduce_RING_SIMPLE_PreMulSum_f8e5m2_0_0_1v@rel32@hi+12
	s_delay_alu instid0(SALU_CYCLE_1)
	s_swappc_b64 s[30:31], s[0:1]
	s_mov_b32 s0, 0
.LBB0_125:                              ;   in Loop: Header=BB0_92 Depth=1
	s_delay_alu instid0(SALU_CYCLE_1)
	s_and_not1_b32 vcc_lo, exec_lo, s0
	s_cbranch_vccnz .LBB0_127
; %bb.126:                              ;   in Loop: Header=BB0_92 Depth=1
	v_mov_b32_e32 v31, v40
	s_add_u32 s8, s36, 0x1000
	s_addc_u32 s9, s37, 0
	s_mov_b64 s[4:5], s[38:39]
	s_mov_b64 s[10:11], s[34:35]
	s_mov_b32 s12, s41
	s_mov_b32 s13, s40
	;; [unrolled: 1-line block ×3, first 2 shown]
	s_getpc_b64 s[0:1]
	s_add_u32 s0, s0, _Z56ncclDevFunc_AllReduce_RING_SIMPLE_PreMulSum_f8e4m3_0_0_1v@rel32@lo+4
	s_addc_u32 s1, s1, _Z56ncclDevFunc_AllReduce_RING_SIMPLE_PreMulSum_f8e4m3_0_0_1v@rel32@hi+12
	s_delay_alu instid0(SALU_CYCLE_1)
	s_swappc_b64 s[30:31], s[0:1]
.LBB0_127:                              ;   in Loop: Header=BB0_92 Depth=1
	s_mov_b32 s0, 0
.LBB0_128:                              ;   in Loop: Header=BB0_92 Depth=1
	s_delay_alu instid0(SALU_CYCLE_1)
	s_and_not1_b32 vcc_lo, exec_lo, s0
	s_cbranch_vccnz .LBB0_143
; %bb.129:                              ;   in Loop: Header=BB0_92 Depth=1
	s_cmpk_gt_u32 s48, 0xa0
	s_mov_b32 s0, -1
	s_cbranch_scc0 .LBB0_138
; %bb.130:                              ;   in Loop: Header=BB0_92 Depth=1
	s_cmpk_gt_u32 s48, 0xa3
	s_cbranch_scc0 .LBB0_132
; %bb.131:                              ;   in Loop: Header=BB0_92 Depth=1
	v_mov_b32_e32 v31, v40
	s_add_u32 s8, s36, 0x1000
	s_addc_u32 s9, s37, 0
	s_mov_b64 s[4:5], s[38:39]
	s_mov_b64 s[10:11], s[34:35]
	s_mov_b32 s12, s41
	s_mov_b32 s13, s40
	;; [unrolled: 1-line block ×3, first 2 shown]
	s_getpc_b64 s[0:1]
	s_add_u32 s0, s0, _Z54ncclDevFunc_AllReduce_RING_SIMPLE_PreMulSum_bf16_0_1_1v@rel32@lo+4
	s_addc_u32 s1, s1, _Z54ncclDevFunc_AllReduce_RING_SIMPLE_PreMulSum_bf16_0_1_1v@rel32@hi+12
	s_delay_alu instid0(SALU_CYCLE_1)
	s_swappc_b64 s[30:31], s[0:1]
	s_mov_b32 s0, 0
.LBB0_132:                              ;   in Loop: Header=BB0_92 Depth=1
	s_delay_alu instid0(SALU_CYCLE_1)
	s_and_not1_b32 vcc_lo, exec_lo, s0
	s_cbranch_vccnz .LBB0_137
; %bb.133:                              ;   in Loop: Header=BB0_92 Depth=1
	s_cmpk_lg_i32 s48, 0xa1
	s_mov_b32 s0, -1
	s_cbranch_scc0 .LBB0_135
; %bb.134:                              ;   in Loop: Header=BB0_92 Depth=1
	v_mov_b32_e32 v31, v40
	s_add_u32 s8, s36, 0x1000
	s_addc_u32 s9, s37, 0
	s_mov_b64 s[4:5], s[38:39]
	s_mov_b64 s[10:11], s[34:35]
	s_mov_b32 s12, s41
	s_mov_b32 s13, s40
	;; [unrolled: 1-line block ×3, first 2 shown]
	s_getpc_b64 s[0:1]
	s_add_u32 s0, s0, _Z54ncclDevFunc_AllReduce_RING_SIMPLE_PreMulSum_bf16_0_0_1v@rel32@lo+4
	s_addc_u32 s1, s1, _Z54ncclDevFunc_AllReduce_RING_SIMPLE_PreMulSum_bf16_0_0_1v@rel32@hi+12
	s_delay_alu instid0(SALU_CYCLE_1)
	s_swappc_b64 s[30:31], s[0:1]
	s_mov_b32 s0, 0
.LBB0_135:                              ;   in Loop: Header=BB0_92 Depth=1
	s_delay_alu instid0(SALU_CYCLE_1)
	s_and_not1_b32 vcc_lo, exec_lo, s0
	s_cbranch_vccnz .LBB0_137
; %bb.136:                              ;   in Loop: Header=BB0_92 Depth=1
	v_mov_b32_e32 v31, v40
	s_add_u32 s8, s36, 0x1000
	s_addc_u32 s9, s37, 0
	s_mov_b64 s[4:5], s[38:39]
	s_mov_b64 s[10:11], s[34:35]
	s_mov_b32 s12, s41
	s_mov_b32 s13, s40
	s_mov_b32 s14, s33
	s_getpc_b64 s[0:1]
	s_add_u32 s0, s0, _Z53ncclDevFunc_AllReduce_RING_SIMPLE_PreMulSum_f64_0_0_1v@rel32@lo+4
	s_addc_u32 s1, s1, _Z53ncclDevFunc_AllReduce_RING_SIMPLE_PreMulSum_f64_0_0_1v@rel32@hi+12
	s_delay_alu instid0(SALU_CYCLE_1)
	s_swappc_b64 s[30:31], s[0:1]
.LBB0_137:                              ;   in Loop: Header=BB0_92 Depth=1
	s_mov_b32 s0, 0
.LBB0_138:                              ;   in Loop: Header=BB0_92 Depth=1
	s_delay_alu instid0(SALU_CYCLE_1)
	s_and_not1_b32 vcc_lo, exec_lo, s0
	s_cbranch_vccnz .LBB0_143
; %bb.139:                              ;   in Loop: Header=BB0_92 Depth=1
	s_cmpk_gt_u32 s48, 0x9d
	s_mov_b32 s0, -1
	s_cbranch_scc0 .LBB0_141
; %bb.140:                              ;   in Loop: Header=BB0_92 Depth=1
	v_mov_b32_e32 v31, v40
	s_add_u32 s8, s36, 0x1000
	s_addc_u32 s9, s37, 0
	s_mov_b64 s[4:5], s[38:39]
	s_mov_b64 s[10:11], s[34:35]
	s_mov_b32 s12, s41
	s_mov_b32 s13, s40
	;; [unrolled: 1-line block ×3, first 2 shown]
	s_getpc_b64 s[0:1]
	s_add_u32 s0, s0, _Z53ncclDevFunc_AllReduce_RING_SIMPLE_PreMulSum_f32_0_0_1v@rel32@lo+4
	s_addc_u32 s1, s1, _Z53ncclDevFunc_AllReduce_RING_SIMPLE_PreMulSum_f32_0_0_1v@rel32@hi+12
	s_delay_alu instid0(SALU_CYCLE_1)
	s_swappc_b64 s[30:31], s[0:1]
	s_mov_b32 s0, 0
.LBB0_141:                              ;   in Loop: Header=BB0_92 Depth=1
	s_delay_alu instid0(SALU_CYCLE_1)
	s_and_not1_b32 vcc_lo, exec_lo, s0
	s_cbranch_vccnz .LBB0_143
; %bb.142:                              ;   in Loop: Header=BB0_92 Depth=1
	v_mov_b32_e32 v31, v40
	s_add_u32 s8, s36, 0x1000
	s_addc_u32 s9, s37, 0
	s_mov_b64 s[4:5], s[38:39]
	s_mov_b64 s[10:11], s[34:35]
	s_mov_b32 s12, s41
	s_mov_b32 s13, s40
	;; [unrolled: 1-line block ×3, first 2 shown]
	s_getpc_b64 s[0:1]
	s_add_u32 s0, s0, _Z53ncclDevFunc_AllReduce_RING_SIMPLE_PreMulSum_f16_0_0_1v@rel32@lo+4
	s_addc_u32 s1, s1, _Z53ncclDevFunc_AllReduce_RING_SIMPLE_PreMulSum_f16_0_0_1v@rel32@hi+12
	s_delay_alu instid0(SALU_CYCLE_1)
	s_swappc_b64 s[30:31], s[0:1]
.LBB0_143:                              ;   in Loop: Header=BB0_92 Depth=1
	s_mov_b32 s0, 0
.LBB0_144:                              ;   in Loop: Header=BB0_92 Depth=1
	s_delay_alu instid0(SALU_CYCLE_1)
	s_and_not1_b32 vcc_lo, exec_lo, s0
	s_cbranch_vccnz .LBB0_181
; %bb.145:                              ;   in Loop: Header=BB0_92 Depth=1
	s_cmpk_gt_u32 s48, 0x90
	s_mov_b32 s0, -1
	s_cbranch_scc0 .LBB0_162
; %bb.146:                              ;   in Loop: Header=BB0_92 Depth=1
	s_cmpk_gt_u32 s48, 0x95
	s_cbranch_scc0 .LBB0_156
; %bb.147:                              ;   in Loop: Header=BB0_92 Depth=1
	s_cmpk_gt_u32 s48, 0x98
	s_cbranch_scc0 .LBB0_153
; %bb.148:                              ;   in Loop: Header=BB0_92 Depth=1
	s_cmpk_lg_i32 s48, 0x99
	s_cbranch_scc0 .LBB0_150
; %bb.149:                              ;   in Loop: Header=BB0_92 Depth=1
	v_mov_b32_e32 v31, v40
	s_add_u32 s8, s36, 0x1000
	s_addc_u32 s9, s37, 0
	s_mov_b64 s[4:5], s[38:39]
	s_mov_b64 s[10:11], s[34:35]
	s_mov_b32 s12, s41
	s_mov_b32 s13, s40
	;; [unrolled: 1-line block ×3, first 2 shown]
	s_getpc_b64 s[0:1]
	s_add_u32 s0, s0, _Z53ncclDevFunc_AllReduce_RING_SIMPLE_PreMulSum_u64_0_0_1v@rel32@lo+4
	s_addc_u32 s1, s1, _Z53ncclDevFunc_AllReduce_RING_SIMPLE_PreMulSum_u64_0_0_1v@rel32@hi+12
	s_delay_alu instid0(SALU_CYCLE_1)
	s_swappc_b64 s[30:31], s[0:1]
	s_mov_b32 s0, 0
.LBB0_150:                              ;   in Loop: Header=BB0_92 Depth=1
	s_delay_alu instid0(SALU_CYCLE_1)
	s_and_not1_b32 vcc_lo, exec_lo, s0
	s_cbranch_vccnz .LBB0_152
; %bb.151:                              ;   in Loop: Header=BB0_92 Depth=1
	v_mov_b32_e32 v31, v40
	s_add_u32 s8, s36, 0x1000
	s_addc_u32 s9, s37, 0
	s_mov_b64 s[4:5], s[38:39]
	s_mov_b64 s[10:11], s[34:35]
	s_mov_b32 s12, s41
	s_mov_b32 s13, s40
	;; [unrolled: 1-line block ×3, first 2 shown]
	s_getpc_b64 s[0:1]
	s_add_u32 s0, s0, _Z53ncclDevFunc_AllReduce_RING_SIMPLE_PreMulSum_u32_0_0_1v@rel32@lo+4
	s_addc_u32 s1, s1, _Z53ncclDevFunc_AllReduce_RING_SIMPLE_PreMulSum_u32_0_0_1v@rel32@hi+12
	s_delay_alu instid0(SALU_CYCLE_1)
	s_swappc_b64 s[30:31], s[0:1]
.LBB0_152:                              ;   in Loop: Header=BB0_92 Depth=1
	s_mov_b32 s0, 0
.LBB0_153:                              ;   in Loop: Header=BB0_92 Depth=1
	s_delay_alu instid0(SALU_CYCLE_1)
	s_and_not1_b32 vcc_lo, exec_lo, s0
	s_cbranch_vccnz .LBB0_155
; %bb.154:                              ;   in Loop: Header=BB0_92 Depth=1
	v_mov_b32_e32 v31, v40
	s_add_u32 s8, s36, 0x1000
	s_addc_u32 s9, s37, 0
	s_mov_b64 s[4:5], s[38:39]
	s_mov_b64 s[10:11], s[34:35]
	s_mov_b32 s12, s41
	s_mov_b32 s13, s40
	;; [unrolled: 1-line block ×3, first 2 shown]
	s_getpc_b64 s[0:1]
	s_add_u32 s0, s0, _Z52ncclDevFunc_AllReduce_RING_SIMPLE_PreMulSum_u8_0_0_1v@rel32@lo+4
	s_addc_u32 s1, s1, _Z52ncclDevFunc_AllReduce_RING_SIMPLE_PreMulSum_u8_0_0_1v@rel32@hi+12
	s_delay_alu instid0(SALU_CYCLE_1)
	s_swappc_b64 s[30:31], s[0:1]
.LBB0_155:                              ;   in Loop: Header=BB0_92 Depth=1
	s_mov_b32 s0, 0
.LBB0_156:                              ;   in Loop: Header=BB0_92 Depth=1
	s_delay_alu instid0(SALU_CYCLE_1)
	s_and_not1_b32 vcc_lo, exec_lo, s0
	s_cbranch_vccnz .LBB0_161
; %bb.157:                              ;   in Loop: Header=BB0_92 Depth=1
	s_cmpk_gt_u32 s48, 0x93
	s_mov_b32 s0, -1
	s_cbranch_scc0 .LBB0_159
; %bb.158:                              ;   in Loop: Header=BB0_92 Depth=1
	v_mov_b32_e32 v31, v40
	s_add_u32 s8, s36, 0x1000
	s_addc_u32 s9, s37, 0
	s_mov_b64 s[4:5], s[38:39]
	s_mov_b64 s[10:11], s[34:35]
	s_mov_b32 s12, s41
	s_mov_b32 s13, s40
	;; [unrolled: 1-line block ×3, first 2 shown]
	s_getpc_b64 s[0:1]
	s_add_u32 s0, s0, _Z53ncclDevFunc_AllReduce_RING_SIMPLE_MinMax_f8e5m2_0_0_1v@rel32@lo+4
	s_addc_u32 s1, s1, _Z53ncclDevFunc_AllReduce_RING_SIMPLE_MinMax_f8e5m2_0_0_1v@rel32@hi+12
	s_delay_alu instid0(SALU_CYCLE_1)
	s_swappc_b64 s[30:31], s[0:1]
	s_mov_b32 s0, 0
.LBB0_159:                              ;   in Loop: Header=BB0_92 Depth=1
	s_delay_alu instid0(SALU_CYCLE_1)
	s_and_not1_b32 vcc_lo, exec_lo, s0
	s_cbranch_vccnz .LBB0_161
; %bb.160:                              ;   in Loop: Header=BB0_92 Depth=1
	v_mov_b32_e32 v31, v40
	s_add_u32 s8, s36, 0x1000
	s_addc_u32 s9, s37, 0
	s_mov_b64 s[4:5], s[38:39]
	s_mov_b64 s[10:11], s[34:35]
	s_mov_b32 s12, s41
	s_mov_b32 s13, s40
	;; [unrolled: 1-line block ×3, first 2 shown]
	s_getpc_b64 s[0:1]
	s_add_u32 s0, s0, _Z53ncclDevFunc_AllReduce_RING_SIMPLE_MinMax_f8e4m3_0_0_1v@rel32@lo+4
	s_addc_u32 s1, s1, _Z53ncclDevFunc_AllReduce_RING_SIMPLE_MinMax_f8e4m3_0_0_1v@rel32@hi+12
	s_delay_alu instid0(SALU_CYCLE_1)
	s_swappc_b64 s[30:31], s[0:1]
.LBB0_161:                              ;   in Loop: Header=BB0_92 Depth=1
	s_mov_b32 s0, 0
.LBB0_162:                              ;   in Loop: Header=BB0_92 Depth=1
	s_delay_alu instid0(SALU_CYCLE_1)
	s_and_not1_b32 vcc_lo, exec_lo, s0
	s_cbranch_vccnz .LBB0_181
; %bb.163:                              ;   in Loop: Header=BB0_92 Depth=1
	s_cmpk_gt_u32 s48, 0x8a
	s_mov_b32 s0, -1
	s_cbranch_scc0 .LBB0_176
; %bb.164:                              ;   in Loop: Header=BB0_92 Depth=1
	s_cmpk_gt_u32 s48, 0x8d
	s_cbranch_scc0 .LBB0_170
; %bb.165:                              ;   in Loop: Header=BB0_92 Depth=1
	s_cmpk_eq_i32 s48, 0x90
	s_cbranch_scc1 .LBB0_167
; %bb.166:                              ;   in Loop: Header=BB0_92 Depth=1
	v_mov_b32_e32 v31, v40
	s_add_u32 s8, s36, 0x1000
	s_addc_u32 s9, s37, 0
	s_mov_b64 s[4:5], s[38:39]
	s_mov_b64 s[10:11], s[34:35]
	s_mov_b32 s12, s41
	s_mov_b32 s13, s40
	;; [unrolled: 1-line block ×3, first 2 shown]
	s_getpc_b64 s[0:1]
	s_add_u32 s0, s0, _Z51ncclDevFunc_AllReduce_RING_SIMPLE_MinMax_bf16_0_0_1v@rel32@lo+4
	s_addc_u32 s1, s1, _Z51ncclDevFunc_AllReduce_RING_SIMPLE_MinMax_bf16_0_0_1v@rel32@hi+12
	s_delay_alu instid0(SALU_CYCLE_1)
	s_swappc_b64 s[30:31], s[0:1]
	s_mov_b32 s0, 0
.LBB0_167:                              ;   in Loop: Header=BB0_92 Depth=1
	s_delay_alu instid0(SALU_CYCLE_1)
	s_and_not1_b32 vcc_lo, exec_lo, s0
	s_cbranch_vccnz .LBB0_169
; %bb.168:                              ;   in Loop: Header=BB0_92 Depth=1
	v_mov_b32_e32 v31, v40
	s_add_u32 s8, s36, 0x1000
	s_addc_u32 s9, s37, 0
	s_mov_b64 s[4:5], s[38:39]
	s_mov_b64 s[10:11], s[34:35]
	s_mov_b32 s12, s41
	s_mov_b32 s13, s40
	;; [unrolled: 1-line block ×3, first 2 shown]
	s_getpc_b64 s[0:1]
	s_add_u32 s0, s0, _Z51ncclDevFunc_AllReduce_RING_SIMPLE_MinMax_bf16_0_1_1v@rel32@lo+4
	s_addc_u32 s1, s1, _Z51ncclDevFunc_AllReduce_RING_SIMPLE_MinMax_bf16_0_1_1v@rel32@hi+12
	s_delay_alu instid0(SALU_CYCLE_1)
	s_swappc_b64 s[30:31], s[0:1]
.LBB0_169:                              ;   in Loop: Header=BB0_92 Depth=1
	s_mov_b32 s0, 0
.LBB0_170:                              ;   in Loop: Header=BB0_92 Depth=1
	s_delay_alu instid0(SALU_CYCLE_1)
	s_and_not1_b32 vcc_lo, exec_lo, s0
	s_cbranch_vccnz .LBB0_175
; %bb.171:                              ;   in Loop: Header=BB0_92 Depth=1
	s_cmpk_lg_i32 s48, 0x8b
	s_mov_b32 s0, -1
	s_cbranch_scc0 .LBB0_173
; %bb.172:                              ;   in Loop: Header=BB0_92 Depth=1
	v_mov_b32_e32 v31, v40
	s_add_u32 s8, s36, 0x1000
	s_addc_u32 s9, s37, 0
	s_mov_b64 s[4:5], s[38:39]
	s_mov_b64 s[10:11], s[34:35]
	s_mov_b32 s12, s41
	s_mov_b32 s13, s40
	;; [unrolled: 1-line block ×3, first 2 shown]
	s_getpc_b64 s[0:1]
	s_add_u32 s0, s0, _Z50ncclDevFunc_AllReduce_RING_SIMPLE_MinMax_f64_0_0_1v@rel32@lo+4
	s_addc_u32 s1, s1, _Z50ncclDevFunc_AllReduce_RING_SIMPLE_MinMax_f64_0_0_1v@rel32@hi+12
	s_delay_alu instid0(SALU_CYCLE_1)
	s_swappc_b64 s[30:31], s[0:1]
	s_mov_b32 s0, 0
.LBB0_173:                              ;   in Loop: Header=BB0_92 Depth=1
	s_delay_alu instid0(SALU_CYCLE_1)
	s_and_not1_b32 vcc_lo, exec_lo, s0
	s_cbranch_vccnz .LBB0_175
; %bb.174:                              ;   in Loop: Header=BB0_92 Depth=1
	v_mov_b32_e32 v31, v40
	s_add_u32 s8, s36, 0x1000
	s_addc_u32 s9, s37, 0
	s_mov_b64 s[4:5], s[38:39]
	s_mov_b64 s[10:11], s[34:35]
	s_mov_b32 s12, s41
	s_mov_b32 s13, s40
	s_mov_b32 s14, s33
	s_getpc_b64 s[0:1]
	s_add_u32 s0, s0, _Z50ncclDevFunc_AllReduce_RING_SIMPLE_MinMax_f32_0_0_1v@rel32@lo+4
	s_addc_u32 s1, s1, _Z50ncclDevFunc_AllReduce_RING_SIMPLE_MinMax_f32_0_0_1v@rel32@hi+12
	s_delay_alu instid0(SALU_CYCLE_1)
	s_swappc_b64 s[30:31], s[0:1]
.LBB0_175:                              ;   in Loop: Header=BB0_92 Depth=1
	s_mov_b32 s0, 0
.LBB0_176:                              ;   in Loop: Header=BB0_92 Depth=1
	s_delay_alu instid0(SALU_CYCLE_1)
	s_and_not1_b32 vcc_lo, exec_lo, s0
	s_cbranch_vccnz .LBB0_181
; %bb.177:                              ;   in Loop: Header=BB0_92 Depth=1
	s_cmpk_gt_u32 s48, 0x87
	s_mov_b32 s0, -1
	s_cbranch_scc0 .LBB0_179
; %bb.178:                              ;   in Loop: Header=BB0_92 Depth=1
	v_mov_b32_e32 v31, v40
	s_add_u32 s8, s36, 0x1000
	s_addc_u32 s9, s37, 0
	s_mov_b64 s[4:5], s[38:39]
	s_mov_b64 s[10:11], s[34:35]
	s_mov_b32 s12, s41
	s_mov_b32 s13, s40
	;; [unrolled: 1-line block ×3, first 2 shown]
	s_getpc_b64 s[0:1]
	s_add_u32 s0, s0, _Z50ncclDevFunc_AllReduce_RING_SIMPLE_MinMax_f16_0_0_1v@rel32@lo+4
	s_addc_u32 s1, s1, _Z50ncclDevFunc_AllReduce_RING_SIMPLE_MinMax_f16_0_0_1v@rel32@hi+12
	s_delay_alu instid0(SALU_CYCLE_1)
	s_swappc_b64 s[30:31], s[0:1]
	s_mov_b32 s0, 0
.LBB0_179:                              ;   in Loop: Header=BB0_92 Depth=1
	s_delay_alu instid0(SALU_CYCLE_1)
	s_and_not1_b32 vcc_lo, exec_lo, s0
	s_cbranch_vccnz .LBB0_181
; %bb.180:                              ;   in Loop: Header=BB0_92 Depth=1
	v_mov_b32_e32 v31, v40
	s_add_u32 s8, s36, 0x1000
	s_addc_u32 s9, s37, 0
	s_mov_b64 s[4:5], s[38:39]
	s_mov_b64 s[10:11], s[34:35]
	s_mov_b32 s12, s41
	s_mov_b32 s13, s40
	;; [unrolled: 1-line block ×3, first 2 shown]
	s_getpc_b64 s[0:1]
	s_add_u32 s0, s0, _Z50ncclDevFunc_AllReduce_RING_SIMPLE_MinMax_u64_0_0_1v@rel32@lo+4
	s_addc_u32 s1, s1, _Z50ncclDevFunc_AllReduce_RING_SIMPLE_MinMax_u64_0_0_1v@rel32@hi+12
	s_delay_alu instid0(SALU_CYCLE_1)
	s_swappc_b64 s[30:31], s[0:1]
.LBB0_181:                              ;   in Loop: Header=BB0_92 Depth=1
	s_mov_b32 s0, 0
.LBB0_182:                              ;   in Loop: Header=BB0_92 Depth=1
	s_delay_alu instid0(SALU_CYCLE_1)
	s_and_not1_b32 vcc_lo, exec_lo, s0
	s_cbranch_vccnz .LBB0_266
; %bb.183:                              ;   in Loop: Header=BB0_92 Depth=1
	s_cmpk_gt_u32 s48, 0x6e
	s_mov_b32 s0, -1
	s_cbranch_scc0 .LBB0_225
; %bb.184:                              ;   in Loop: Header=BB0_92 Depth=1
	s_cmpk_gt_u32 s48, 0x79
	s_cbranch_scc0 .LBB0_204
; %bb.185:                              ;   in Loop: Header=BB0_92 Depth=1
	s_cmpk_gt_u32 s48, 0x7f
	;; [unrolled: 3-line block ×3, first 2 shown]
	s_cbranch_scc0 .LBB0_192
; %bb.187:                              ;   in Loop: Header=BB0_92 Depth=1
	s_cmpk_lg_i32 s48, 0x83
	s_cbranch_scc0 .LBB0_189
; %bb.188:                              ;   in Loop: Header=BB0_92 Depth=1
	v_mov_b32_e32 v31, v40
	s_add_u32 s8, s36, 0x1000
	s_addc_u32 s9, s37, 0
	s_mov_b64 s[4:5], s[38:39]
	s_mov_b64 s[10:11], s[34:35]
	s_mov_b32 s12, s41
	s_mov_b32 s13, s40
	;; [unrolled: 1-line block ×3, first 2 shown]
	s_getpc_b64 s[0:1]
	s_add_u32 s0, s0, _Z50ncclDevFunc_AllReduce_RING_SIMPLE_MinMax_u32_0_0_1v@rel32@lo+4
	s_addc_u32 s1, s1, _Z50ncclDevFunc_AllReduce_RING_SIMPLE_MinMax_u32_0_0_1v@rel32@hi+12
	s_delay_alu instid0(SALU_CYCLE_1)
	s_swappc_b64 s[30:31], s[0:1]
	s_mov_b32 s0, 0
.LBB0_189:                              ;   in Loop: Header=BB0_92 Depth=1
	s_delay_alu instid0(SALU_CYCLE_1)
	s_and_not1_b32 vcc_lo, exec_lo, s0
	s_cbranch_vccnz .LBB0_191
; %bb.190:                              ;   in Loop: Header=BB0_92 Depth=1
	v_mov_b32_e32 v31, v40
	s_add_u32 s8, s36, 0x1000
	s_addc_u32 s9, s37, 0
	s_mov_b64 s[4:5], s[38:39]
	s_mov_b64 s[10:11], s[34:35]
	s_mov_b32 s12, s41
	s_mov_b32 s13, s40
	;; [unrolled: 1-line block ×3, first 2 shown]
	s_getpc_b64 s[0:1]
	s_add_u32 s0, s0, _Z49ncclDevFunc_AllReduce_RING_SIMPLE_MinMax_u8_0_0_1v@rel32@lo+4
	s_addc_u32 s1, s1, _Z49ncclDevFunc_AllReduce_RING_SIMPLE_MinMax_u8_0_0_1v@rel32@hi+12
	s_delay_alu instid0(SALU_CYCLE_1)
	s_swappc_b64 s[30:31], s[0:1]
.LBB0_191:                              ;   in Loop: Header=BB0_92 Depth=1
	s_mov_b32 s0, 0
.LBB0_192:                              ;   in Loop: Header=BB0_92 Depth=1
	s_delay_alu instid0(SALU_CYCLE_1)
	s_and_not1_b32 vcc_lo, exec_lo, s0
	s_cbranch_vccnz .LBB0_194
; %bb.193:                              ;   in Loop: Header=BB0_92 Depth=1
	v_mov_b32_e32 v31, v40
	s_add_u32 s8, s36, 0x1000
	s_addc_u32 s9, s37, 0
	s_mov_b64 s[4:5], s[38:39]
	s_mov_b64 s[10:11], s[34:35]
	s_mov_b32 s12, s41
	s_mov_b32 s13, s40
	;; [unrolled: 1-line block ×3, first 2 shown]
	s_getpc_b64 s[0:1]
	s_add_u32 s0, s0, _Z51ncclDevFunc_AllReduce_RING_SIMPLE_Prod_f8e5m2_0_0_1v@rel32@lo+4
	s_addc_u32 s1, s1, _Z51ncclDevFunc_AllReduce_RING_SIMPLE_Prod_f8e5m2_0_0_1v@rel32@hi+12
	s_delay_alu instid0(SALU_CYCLE_1)
	s_swappc_b64 s[30:31], s[0:1]
.LBB0_194:                              ;   in Loop: Header=BB0_92 Depth=1
	s_mov_b32 s0, 0
.LBB0_195:                              ;   in Loop: Header=BB0_92 Depth=1
	s_delay_alu instid0(SALU_CYCLE_1)
	s_and_not1_b32 vcc_lo, exec_lo, s0
	s_cbranch_vccnz .LBB0_203
; %bb.196:                              ;   in Loop: Header=BB0_92 Depth=1
	s_cmpk_gt_u32 s48, 0x7c
	s_mov_b32 s0, -1
	s_cbranch_scc0 .LBB0_198
; %bb.197:                              ;   in Loop: Header=BB0_92 Depth=1
	v_mov_b32_e32 v31, v40
	s_add_u32 s8, s36, 0x1000
	s_addc_u32 s9, s37, 0
	s_mov_b64 s[4:5], s[38:39]
	s_mov_b64 s[10:11], s[34:35]
	s_mov_b32 s12, s41
	s_mov_b32 s13, s40
	;; [unrolled: 1-line block ×3, first 2 shown]
	s_getpc_b64 s[0:1]
	s_add_u32 s0, s0, _Z51ncclDevFunc_AllReduce_RING_SIMPLE_Prod_f8e4m3_0_0_1v@rel32@lo+4
	s_addc_u32 s1, s1, _Z51ncclDevFunc_AllReduce_RING_SIMPLE_Prod_f8e4m3_0_0_1v@rel32@hi+12
	s_delay_alu instid0(SALU_CYCLE_1)
	s_swappc_b64 s[30:31], s[0:1]
	s_mov_b32 s0, 0
.LBB0_198:                              ;   in Loop: Header=BB0_92 Depth=1
	s_delay_alu instid0(SALU_CYCLE_1)
	s_and_not1_b32 vcc_lo, exec_lo, s0
	s_cbranch_vccnz .LBB0_203
; %bb.199:                              ;   in Loop: Header=BB0_92 Depth=1
	s_cmpk_eq_i32 s48, 0x7c
	s_mov_b32 s0, -1
	s_cbranch_scc1 .LBB0_201
; %bb.200:                              ;   in Loop: Header=BB0_92 Depth=1
	v_mov_b32_e32 v31, v40
	s_add_u32 s8, s36, 0x1000
	s_addc_u32 s9, s37, 0
	s_mov_b64 s[4:5], s[38:39]
	s_mov_b64 s[10:11], s[34:35]
	s_mov_b32 s12, s41
	s_mov_b32 s13, s40
	;; [unrolled: 1-line block ×3, first 2 shown]
	s_getpc_b64 s[0:1]
	s_add_u32 s0, s0, _Z49ncclDevFunc_AllReduce_RING_SIMPLE_Prod_bf16_0_0_1v@rel32@lo+4
	s_addc_u32 s1, s1, _Z49ncclDevFunc_AllReduce_RING_SIMPLE_Prod_bf16_0_0_1v@rel32@hi+12
	s_delay_alu instid0(SALU_CYCLE_1)
	s_swappc_b64 s[30:31], s[0:1]
	s_mov_b32 s0, 0
.LBB0_201:                              ;   in Loop: Header=BB0_92 Depth=1
	s_delay_alu instid0(SALU_CYCLE_1)
	s_and_not1_b32 vcc_lo, exec_lo, s0
	s_cbranch_vccnz .LBB0_203
; %bb.202:                              ;   in Loop: Header=BB0_92 Depth=1
	v_mov_b32_e32 v31, v40
	s_add_u32 s8, s36, 0x1000
	s_addc_u32 s9, s37, 0
	s_mov_b64 s[4:5], s[38:39]
	s_mov_b64 s[10:11], s[34:35]
	s_mov_b32 s12, s41
	s_mov_b32 s13, s40
	;; [unrolled: 1-line block ×3, first 2 shown]
	s_getpc_b64 s[0:1]
	s_add_u32 s0, s0, _Z49ncclDevFunc_AllReduce_RING_SIMPLE_Prod_bf16_0_1_1v@rel32@lo+4
	s_addc_u32 s1, s1, _Z49ncclDevFunc_AllReduce_RING_SIMPLE_Prod_bf16_0_1_1v@rel32@hi+12
	s_delay_alu instid0(SALU_CYCLE_1)
	s_swappc_b64 s[30:31], s[0:1]
.LBB0_203:                              ;   in Loop: Header=BB0_92 Depth=1
	s_mov_b32 s0, 0
.LBB0_204:                              ;   in Loop: Header=BB0_92 Depth=1
	s_delay_alu instid0(SALU_CYCLE_1)
	s_and_not1_b32 vcc_lo, exec_lo, s0
	s_cbranch_vccnz .LBB0_224
; %bb.205:                              ;   in Loop: Header=BB0_92 Depth=1
	s_cmpk_gt_u32 s48, 0x73
	s_mov_b32 s0, -1
	s_cbranch_scc0 .LBB0_215
; %bb.206:                              ;   in Loop: Header=BB0_92 Depth=1
	s_cmpk_gt_u32 s48, 0x76
	s_cbranch_scc0 .LBB0_212
; %bb.207:                              ;   in Loop: Header=BB0_92 Depth=1
	s_cmpk_lg_i32 s48, 0x77
	s_cbranch_scc0 .LBB0_209
; %bb.208:                              ;   in Loop: Header=BB0_92 Depth=1
	v_mov_b32_e32 v31, v40
	s_add_u32 s8, s36, 0x1000
	s_addc_u32 s9, s37, 0
	s_mov_b64 s[4:5], s[38:39]
	s_mov_b64 s[10:11], s[34:35]
	s_mov_b32 s12, s41
	s_mov_b32 s13, s40
	;; [unrolled: 1-line block ×3, first 2 shown]
	s_getpc_b64 s[0:1]
	s_add_u32 s0, s0, _Z48ncclDevFunc_AllReduce_RING_SIMPLE_Prod_f64_0_0_1v@rel32@lo+4
	s_addc_u32 s1, s1, _Z48ncclDevFunc_AllReduce_RING_SIMPLE_Prod_f64_0_0_1v@rel32@hi+12
	s_delay_alu instid0(SALU_CYCLE_1)
	s_swappc_b64 s[30:31], s[0:1]
	s_mov_b32 s0, 0
.LBB0_209:                              ;   in Loop: Header=BB0_92 Depth=1
	s_delay_alu instid0(SALU_CYCLE_1)
	s_and_not1_b32 vcc_lo, exec_lo, s0
	s_cbranch_vccnz .LBB0_211
; %bb.210:                              ;   in Loop: Header=BB0_92 Depth=1
	v_mov_b32_e32 v31, v40
	s_add_u32 s8, s36, 0x1000
	s_addc_u32 s9, s37, 0
	s_mov_b64 s[4:5], s[38:39]
	s_mov_b64 s[10:11], s[34:35]
	s_mov_b32 s12, s41
	s_mov_b32 s13, s40
	;; [unrolled: 1-line block ×3, first 2 shown]
	s_getpc_b64 s[0:1]
	s_add_u32 s0, s0, _Z48ncclDevFunc_AllReduce_RING_SIMPLE_Prod_f32_0_0_1v@rel32@lo+4
	s_addc_u32 s1, s1, _Z48ncclDevFunc_AllReduce_RING_SIMPLE_Prod_f32_0_0_1v@rel32@hi+12
	s_delay_alu instid0(SALU_CYCLE_1)
	s_swappc_b64 s[30:31], s[0:1]
.LBB0_211:                              ;   in Loop: Header=BB0_92 Depth=1
	s_mov_b32 s0, 0
.LBB0_212:                              ;   in Loop: Header=BB0_92 Depth=1
	s_delay_alu instid0(SALU_CYCLE_1)
	s_and_not1_b32 vcc_lo, exec_lo, s0
	s_cbranch_vccnz .LBB0_214
; %bb.213:                              ;   in Loop: Header=BB0_92 Depth=1
	v_mov_b32_e32 v31, v40
	s_add_u32 s8, s36, 0x1000
	s_addc_u32 s9, s37, 0
	s_mov_b64 s[4:5], s[38:39]
	s_mov_b64 s[10:11], s[34:35]
	s_mov_b32 s12, s41
	s_mov_b32 s13, s40
	;; [unrolled: 1-line block ×3, first 2 shown]
	s_getpc_b64 s[0:1]
	s_add_u32 s0, s0, _Z48ncclDevFunc_AllReduce_RING_SIMPLE_Prod_f16_0_0_1v@rel32@lo+4
	s_addc_u32 s1, s1, _Z48ncclDevFunc_AllReduce_RING_SIMPLE_Prod_f16_0_0_1v@rel32@hi+12
	s_delay_alu instid0(SALU_CYCLE_1)
	s_swappc_b64 s[30:31], s[0:1]
.LBB0_214:                              ;   in Loop: Header=BB0_92 Depth=1
	s_mov_b32 s0, 0
.LBB0_215:                              ;   in Loop: Header=BB0_92 Depth=1
	s_delay_alu instid0(SALU_CYCLE_1)
	s_and_not1_b32 vcc_lo, exec_lo, s0
	s_cbranch_vccnz .LBB0_224
; %bb.216:                              ;   in Loop: Header=BB0_92 Depth=1
	s_cmpk_gt_u32 s48, 0x70
	s_mov_b32 s0, -1
	s_cbranch_scc0 .LBB0_222
; %bb.217:                              ;   in Loop: Header=BB0_92 Depth=1
	s_cmpk_lg_i32 s48, 0x71
	s_cbranch_scc0 .LBB0_219
; %bb.218:                              ;   in Loop: Header=BB0_92 Depth=1
	v_mov_b32_e32 v31, v40
	s_add_u32 s8, s36, 0x1000
	s_addc_u32 s9, s37, 0
	s_mov_b64 s[4:5], s[38:39]
	s_mov_b64 s[10:11], s[34:35]
	s_mov_b32 s12, s41
	s_mov_b32 s13, s40
	;; [unrolled: 1-line block ×3, first 2 shown]
	s_getpc_b64 s[0:1]
	s_add_u32 s0, s0, _Z48ncclDevFunc_AllReduce_RING_SIMPLE_Prod_u64_0_0_1v@rel32@lo+4
	s_addc_u32 s1, s1, _Z48ncclDevFunc_AllReduce_RING_SIMPLE_Prod_u64_0_0_1v@rel32@hi+12
	s_delay_alu instid0(SALU_CYCLE_1)
	s_swappc_b64 s[30:31], s[0:1]
	s_mov_b32 s0, 0
.LBB0_219:                              ;   in Loop: Header=BB0_92 Depth=1
	s_delay_alu instid0(SALU_CYCLE_1)
	s_and_not1_b32 vcc_lo, exec_lo, s0
	s_cbranch_vccnz .LBB0_221
; %bb.220:                              ;   in Loop: Header=BB0_92 Depth=1
	v_mov_b32_e32 v31, v40
	s_add_u32 s8, s36, 0x1000
	s_addc_u32 s9, s37, 0
	s_mov_b64 s[4:5], s[38:39]
	s_mov_b64 s[10:11], s[34:35]
	s_mov_b32 s12, s41
	s_mov_b32 s13, s40
	;; [unrolled: 1-line block ×3, first 2 shown]
	s_getpc_b64 s[0:1]
	s_add_u32 s0, s0, _Z48ncclDevFunc_AllReduce_RING_SIMPLE_Prod_u32_0_0_1v@rel32@lo+4
	s_addc_u32 s1, s1, _Z48ncclDevFunc_AllReduce_RING_SIMPLE_Prod_u32_0_0_1v@rel32@hi+12
	s_delay_alu instid0(SALU_CYCLE_1)
	s_swappc_b64 s[30:31], s[0:1]
.LBB0_221:                              ;   in Loop: Header=BB0_92 Depth=1
	s_mov_b32 s0, 0
.LBB0_222:                              ;   in Loop: Header=BB0_92 Depth=1
	s_delay_alu instid0(SALU_CYCLE_1)
	s_and_not1_b32 vcc_lo, exec_lo, s0
	s_cbranch_vccnz .LBB0_224
; %bb.223:                              ;   in Loop: Header=BB0_92 Depth=1
	v_mov_b32_e32 v31, v40
	s_add_u32 s8, s36, 0x1000
	s_addc_u32 s9, s37, 0
	s_mov_b64 s[4:5], s[38:39]
	s_mov_b64 s[10:11], s[34:35]
	s_mov_b32 s12, s41
	s_mov_b32 s13, s40
	;; [unrolled: 1-line block ×3, first 2 shown]
	s_getpc_b64 s[0:1]
	s_add_u32 s0, s0, _Z47ncclDevFunc_AllReduce_RING_SIMPLE_Prod_u8_0_0_1v@rel32@lo+4
	s_addc_u32 s1, s1, _Z47ncclDevFunc_AllReduce_RING_SIMPLE_Prod_u8_0_0_1v@rel32@hi+12
	s_delay_alu instid0(SALU_CYCLE_1)
	s_swappc_b64 s[30:31], s[0:1]
.LBB0_224:                              ;   in Loop: Header=BB0_92 Depth=1
	s_mov_b32 s0, 0
.LBB0_225:                              ;   in Loop: Header=BB0_92 Depth=1
	s_delay_alu instid0(SALU_CYCLE_1)
	s_and_not1_b32 vcc_lo, exec_lo, s0
	s_cbranch_vccnz .LBB0_266
; %bb.226:                              ;   in Loop: Header=BB0_92 Depth=1
	s_cmpk_gt_u32 s48, 0x63
	s_mov_b32 s0, -1
	s_cbranch_scc0 .LBB0_243
; %bb.227:                              ;   in Loop: Header=BB0_92 Depth=1
	s_cmpk_gt_u32 s48, 0x68
	s_cbranch_scc0 .LBB0_233
; %bb.228:                              ;   in Loop: Header=BB0_92 Depth=1
	s_cmpk_gt_u32 s48, 0x6b
	s_cbranch_scc0 .LBB0_230
; %bb.229:                              ;   in Loop: Header=BB0_92 Depth=1
	v_mov_b32_e32 v31, v40
	s_add_u32 s8, s36, 0x1000
	s_addc_u32 s9, s37, 0
	s_mov_b64 s[4:5], s[38:39]
	s_mov_b64 s[10:11], s[34:35]
	s_mov_b32 s12, s41
	s_mov_b32 s13, s40
	s_mov_b32 s14, s33
	s_getpc_b64 s[0:1]
	s_add_u32 s0, s0, _Z50ncclDevFunc_AllReduce_RING_SIMPLE_Sum_f8e5m2_0_0_1v@rel32@lo+4
	s_addc_u32 s1, s1, _Z50ncclDevFunc_AllReduce_RING_SIMPLE_Sum_f8e5m2_0_0_1v@rel32@hi+12
	s_delay_alu instid0(SALU_CYCLE_1)
	s_swappc_b64 s[30:31], s[0:1]
	s_mov_b32 s0, 0
.LBB0_230:                              ;   in Loop: Header=BB0_92 Depth=1
	s_delay_alu instid0(SALU_CYCLE_1)
	s_and_not1_b32 vcc_lo, exec_lo, s0
	s_cbranch_vccnz .LBB0_232
; %bb.231:                              ;   in Loop: Header=BB0_92 Depth=1
	v_mov_b32_e32 v31, v40
	s_add_u32 s8, s36, 0x1000
	s_addc_u32 s9, s37, 0
	s_mov_b64 s[4:5], s[38:39]
	s_mov_b64 s[10:11], s[34:35]
	s_mov_b32 s12, s41
	s_mov_b32 s13, s40
	;; [unrolled: 1-line block ×3, first 2 shown]
	s_getpc_b64 s[0:1]
	s_add_u32 s0, s0, _Z50ncclDevFunc_AllReduce_RING_SIMPLE_Sum_f8e4m3_0_0_1v@rel32@lo+4
	s_addc_u32 s1, s1, _Z50ncclDevFunc_AllReduce_RING_SIMPLE_Sum_f8e4m3_0_0_1v@rel32@hi+12
	s_delay_alu instid0(SALU_CYCLE_1)
	s_swappc_b64 s[30:31], s[0:1]
.LBB0_232:                              ;   in Loop: Header=BB0_92 Depth=1
	s_mov_b32 s0, 0
.LBB0_233:                              ;   in Loop: Header=BB0_92 Depth=1
	s_delay_alu instid0(SALU_CYCLE_1)
	s_and_not1_b32 vcc_lo, exec_lo, s0
	s_cbranch_vccnz .LBB0_242
; %bb.234:                              ;   in Loop: Header=BB0_92 Depth=1
	s_cmpk_gt_u32 s48, 0x65
	s_mov_b32 s0, -1
	s_cbranch_scc0 .LBB0_240
; %bb.235:                              ;   in Loop: Header=BB0_92 Depth=1
	s_cmpk_eq_i32 s48, 0x68
	s_cbranch_scc1 .LBB0_237
; %bb.236:                              ;   in Loop: Header=BB0_92 Depth=1
	v_mov_b32_e32 v31, v40
	s_add_u32 s8, s36, 0x1000
	s_addc_u32 s9, s37, 0
	s_mov_b64 s[4:5], s[38:39]
	s_mov_b64 s[10:11], s[34:35]
	s_mov_b32 s12, s41
	s_mov_b32 s13, s40
	;; [unrolled: 1-line block ×3, first 2 shown]
	s_getpc_b64 s[0:1]
	s_add_u32 s0, s0, _Z48ncclDevFunc_AllReduce_RING_SIMPLE_Sum_bf16_0_0_1v@rel32@lo+4
	s_addc_u32 s1, s1, _Z48ncclDevFunc_AllReduce_RING_SIMPLE_Sum_bf16_0_0_1v@rel32@hi+12
	s_delay_alu instid0(SALU_CYCLE_1)
	s_swappc_b64 s[30:31], s[0:1]
	s_mov_b32 s0, 0
.LBB0_237:                              ;   in Loop: Header=BB0_92 Depth=1
	s_delay_alu instid0(SALU_CYCLE_1)
	s_and_not1_b32 vcc_lo, exec_lo, s0
	s_cbranch_vccnz .LBB0_239
; %bb.238:                              ;   in Loop: Header=BB0_92 Depth=1
	v_mov_b32_e32 v31, v40
	s_add_u32 s8, s36, 0x1000
	s_addc_u32 s9, s37, 0
	s_mov_b64 s[4:5], s[38:39]
	s_mov_b64 s[10:11], s[34:35]
	s_mov_b32 s12, s41
	s_mov_b32 s13, s40
	;; [unrolled: 1-line block ×3, first 2 shown]
	s_getpc_b64 s[0:1]
	s_add_u32 s0, s0, _Z48ncclDevFunc_AllReduce_RING_SIMPLE_Sum_bf16_0_1_1v@rel32@lo+4
	s_addc_u32 s1, s1, _Z48ncclDevFunc_AllReduce_RING_SIMPLE_Sum_bf16_0_1_1v@rel32@hi+12
	s_delay_alu instid0(SALU_CYCLE_1)
	s_swappc_b64 s[30:31], s[0:1]
.LBB0_239:                              ;   in Loop: Header=BB0_92 Depth=1
	s_mov_b32 s0, 0
.LBB0_240:                              ;   in Loop: Header=BB0_92 Depth=1
	s_delay_alu instid0(SALU_CYCLE_1)
	s_and_not1_b32 vcc_lo, exec_lo, s0
	s_cbranch_vccnz .LBB0_242
; %bb.241:                              ;   in Loop: Header=BB0_92 Depth=1
	v_mov_b32_e32 v31, v40
	s_add_u32 s8, s36, 0x1000
	s_addc_u32 s9, s37, 0
	s_mov_b64 s[4:5], s[38:39]
	s_mov_b64 s[10:11], s[34:35]
	s_mov_b32 s12, s41
	s_mov_b32 s13, s40
	;; [unrolled: 1-line block ×3, first 2 shown]
	s_getpc_b64 s[0:1]
	s_add_u32 s0, s0, _Z47ncclDevFunc_AllReduce_RING_SIMPLE_Sum_f64_0_0_1v@rel32@lo+4
	s_addc_u32 s1, s1, _Z47ncclDevFunc_AllReduce_RING_SIMPLE_Sum_f64_0_0_1v@rel32@hi+12
	s_delay_alu instid0(SALU_CYCLE_1)
	s_swappc_b64 s[30:31], s[0:1]
.LBB0_242:                              ;   in Loop: Header=BB0_92 Depth=1
	s_mov_b32 s0, 0
.LBB0_243:                              ;   in Loop: Header=BB0_92 Depth=1
	s_delay_alu instid0(SALU_CYCLE_1)
	s_and_not1_b32 vcc_lo, exec_lo, s0
	s_cbranch_vccnz .LBB0_266
; %bb.244:                              ;   in Loop: Header=BB0_92 Depth=1
	s_cmpk_gt_u32 s48, 0x5d
	s_mov_b32 s0, -1
	s_cbranch_scc0 .LBB0_254
; %bb.245:                              ;   in Loop: Header=BB0_92 Depth=1
	s_cmpk_gt_u32 s48, 0x60
	s_cbranch_scc0 .LBB0_251
; %bb.246:                              ;   in Loop: Header=BB0_92 Depth=1
	s_cmpk_lg_i32 s48, 0x61
	s_cbranch_scc0 .LBB0_248
; %bb.247:                              ;   in Loop: Header=BB0_92 Depth=1
	v_mov_b32_e32 v31, v40
	s_add_u32 s8, s36, 0x1000
	s_addc_u32 s9, s37, 0
	s_mov_b64 s[4:5], s[38:39]
	s_mov_b64 s[10:11], s[34:35]
	s_mov_b32 s12, s41
	s_mov_b32 s13, s40
	;; [unrolled: 1-line block ×3, first 2 shown]
	s_getpc_b64 s[0:1]
	s_add_u32 s0, s0, _Z47ncclDevFunc_AllReduce_RING_SIMPLE_Sum_f32_0_0_1v@rel32@lo+4
	s_addc_u32 s1, s1, _Z47ncclDevFunc_AllReduce_RING_SIMPLE_Sum_f32_0_0_1v@rel32@hi+12
	s_delay_alu instid0(SALU_CYCLE_1)
	s_swappc_b64 s[30:31], s[0:1]
	s_mov_b32 s0, 0
.LBB0_248:                              ;   in Loop: Header=BB0_92 Depth=1
	s_delay_alu instid0(SALU_CYCLE_1)
	s_and_not1_b32 vcc_lo, exec_lo, s0
	s_cbranch_vccnz .LBB0_250
; %bb.249:                              ;   in Loop: Header=BB0_92 Depth=1
	v_mov_b32_e32 v31, v40
	s_add_u32 s8, s36, 0x1000
	s_addc_u32 s9, s37, 0
	s_mov_b64 s[4:5], s[38:39]
	s_mov_b64 s[10:11], s[34:35]
	s_mov_b32 s12, s41
	s_mov_b32 s13, s40
	;; [unrolled: 1-line block ×3, first 2 shown]
	s_getpc_b64 s[0:1]
	s_add_u32 s0, s0, _Z47ncclDevFunc_AllReduce_RING_SIMPLE_Sum_f16_0_0_1v@rel32@lo+4
	s_addc_u32 s1, s1, _Z47ncclDevFunc_AllReduce_RING_SIMPLE_Sum_f16_0_0_1v@rel32@hi+12
	s_delay_alu instid0(SALU_CYCLE_1)
	s_swappc_b64 s[30:31], s[0:1]
.LBB0_250:                              ;   in Loop: Header=BB0_92 Depth=1
	s_mov_b32 s0, 0
.LBB0_251:                              ;   in Loop: Header=BB0_92 Depth=1
	s_delay_alu instid0(SALU_CYCLE_1)
	s_and_not1_b32 vcc_lo, exec_lo, s0
	s_cbranch_vccnz .LBB0_253
; %bb.252:                              ;   in Loop: Header=BB0_92 Depth=1
	v_mov_b32_e32 v31, v40
	s_add_u32 s8, s36, 0x1000
	s_addc_u32 s9, s37, 0
	s_mov_b64 s[4:5], s[38:39]
	s_mov_b64 s[10:11], s[34:35]
	s_mov_b32 s12, s41
	s_mov_b32 s13, s40
	;; [unrolled: 1-line block ×3, first 2 shown]
	s_getpc_b64 s[0:1]
	s_add_u32 s0, s0, _Z47ncclDevFunc_AllReduce_RING_SIMPLE_Sum_u64_0_0_1v@rel32@lo+4
	s_addc_u32 s1, s1, _Z47ncclDevFunc_AllReduce_RING_SIMPLE_Sum_u64_0_0_1v@rel32@hi+12
	s_delay_alu instid0(SALU_CYCLE_1)
	s_swappc_b64 s[30:31], s[0:1]
.LBB0_253:                              ;   in Loop: Header=BB0_92 Depth=1
	s_mov_b32 s0, 0
.LBB0_254:                              ;   in Loop: Header=BB0_92 Depth=1
	s_delay_alu instid0(SALU_CYCLE_1)
	s_and_not1_b32 vcc_lo, exec_lo, s0
	s_cbranch_vccnz .LBB0_266
; %bb.255:                              ;   in Loop: Header=BB0_92 Depth=1
	s_cmpk_gt_u32 s48, 0x5a
	s_mov_b32 s0, -1
	s_cbranch_scc0 .LBB0_261
; %bb.256:                              ;   in Loop: Header=BB0_92 Depth=1
	s_cmpk_lg_i32 s48, 0x5b
	s_cbranch_scc0 .LBB0_258
; %bb.257:                              ;   in Loop: Header=BB0_92 Depth=1
	v_mov_b32_e32 v31, v40
	s_add_u32 s8, s36, 0x1000
	s_addc_u32 s9, s37, 0
	s_mov_b64 s[4:5], s[38:39]
	s_mov_b64 s[10:11], s[34:35]
	s_mov_b32 s12, s41
	s_mov_b32 s13, s40
	s_mov_b32 s14, s33
	s_getpc_b64 s[0:1]
	s_add_u32 s0, s0, _Z47ncclDevFunc_AllReduce_RING_SIMPLE_Sum_u32_0_0_1v@rel32@lo+4
	s_addc_u32 s1, s1, _Z47ncclDevFunc_AllReduce_RING_SIMPLE_Sum_u32_0_0_1v@rel32@hi+12
	s_delay_alu instid0(SALU_CYCLE_1)
	s_swappc_b64 s[30:31], s[0:1]
	s_mov_b32 s0, 0
.LBB0_258:                              ;   in Loop: Header=BB0_92 Depth=1
	s_delay_alu instid0(SALU_CYCLE_1)
	s_and_not1_b32 vcc_lo, exec_lo, s0
	s_cbranch_vccnz .LBB0_260
; %bb.259:                              ;   in Loop: Header=BB0_92 Depth=1
	v_mov_b32_e32 v31, v40
	s_add_u32 s8, s36, 0x1000
	s_addc_u32 s9, s37, 0
	s_mov_b64 s[4:5], s[38:39]
	s_mov_b64 s[10:11], s[34:35]
	s_mov_b32 s12, s41
	s_mov_b32 s13, s40
	;; [unrolled: 1-line block ×3, first 2 shown]
	s_getpc_b64 s[0:1]
	s_add_u32 s0, s0, _Z46ncclDevFunc_AllReduce_RING_SIMPLE_Sum_u8_0_0_1v@rel32@lo+4
	s_addc_u32 s1, s1, _Z46ncclDevFunc_AllReduce_RING_SIMPLE_Sum_u8_0_0_1v@rel32@hi+12
	s_delay_alu instid0(SALU_CYCLE_1)
	s_swappc_b64 s[30:31], s[0:1]
.LBB0_260:                              ;   in Loop: Header=BB0_92 Depth=1
	s_mov_b32 s0, 0
.LBB0_261:                              ;   in Loop: Header=BB0_92 Depth=1
	s_delay_alu instid0(SALU_CYCLE_1)
	s_and_not1_b32 vcc_lo, exec_lo, s0
	s_cbranch_vccnz .LBB0_266
; %bb.262:                              ;   in Loop: Header=BB0_92 Depth=1
	s_cmpk_eq_i32 s48, 0x5a
	s_mov_b32 s0, -1
	s_cbranch_scc1 .LBB0_264
; %bb.263:                              ;   in Loop: Header=BB0_92 Depth=1
	v_mov_b32_e32 v31, v40
	s_add_u32 s8, s36, 0x1000
	s_addc_u32 s9, s37, 0
	s_mov_b64 s[4:5], s[38:39]
	s_mov_b64 s[10:11], s[34:35]
	s_mov_b32 s12, s41
	s_mov_b32 s13, s40
	;; [unrolled: 1-line block ×3, first 2 shown]
	s_getpc_b64 s[0:1]
	s_add_u32 s0, s0, _Z54ncclDevFunc_ReduceScatter_RING_LL_SumPostDiv_u32_0_0_1v@rel32@lo+4
	s_addc_u32 s1, s1, _Z54ncclDevFunc_ReduceScatter_RING_LL_SumPostDiv_u32_0_0_1v@rel32@hi+12
	s_delay_alu instid0(SALU_CYCLE_1)
	s_swappc_b64 s[30:31], s[0:1]
	s_mov_b32 s0, 0
.LBB0_264:                              ;   in Loop: Header=BB0_92 Depth=1
	s_delay_alu instid0(SALU_CYCLE_1)
	s_and_not1_b32 vcc_lo, exec_lo, s0
	s_cbranch_vccnz .LBB0_266
; %bb.265:                              ;   in Loop: Header=BB0_92 Depth=1
	v_mov_b32_e32 v31, v40
	s_add_u32 s8, s36, 0x1000
	s_addc_u32 s9, s37, 0
	s_mov_b64 s[4:5], s[38:39]
	s_mov_b64 s[10:11], s[34:35]
	s_mov_b32 s12, s41
	s_mov_b32 s13, s40
	;; [unrolled: 1-line block ×3, first 2 shown]
	s_getpc_b64 s[0:1]
	s_add_u32 s0, s0, _Z54ncclDevFunc_ReduceScatter_RING_LL_SumPostDiv_u64_0_0_1v@rel32@lo+4
	s_addc_u32 s1, s1, _Z54ncclDevFunc_ReduceScatter_RING_LL_SumPostDiv_u64_0_0_1v@rel32@hi+12
	s_delay_alu instid0(SALU_CYCLE_1)
	s_swappc_b64 s[30:31], s[0:1]
.LBB0_266:                              ;   in Loop: Header=BB0_92 Depth=1
	s_mov_b32 s0, 0
.LBB0_267:                              ;   in Loop: Header=BB0_92 Depth=1
	s_delay_alu instid0(SALU_CYCLE_1)
	s_and_not1_b32 vcc_lo, exec_lo, s0
	s_cbranch_vccnz .LBB0_578
; %bb.268:                              ;   in Loop: Header=BB0_92 Depth=1
	s_delay_alu instid0(VALU_DEP_1)
	s_cmp_gt_u32 s48, 43
	s_mov_b32 s0, -1
	s_cbranch_scc0 .LBB0_423
; %bb.269:                              ;   in Loop: Header=BB0_92 Depth=1
	s_cmpk_gt_u32 s48, 0x41
	s_cbranch_scc0 .LBB0_352
; %bb.270:                              ;   in Loop: Header=BB0_92 Depth=1
	s_cmpk_gt_u32 s48, 0x4c
	;; [unrolled: 3-line block ×4, first 2 shown]
	s_cbranch_scc0 .LBB0_282
; %bb.273:                              ;   in Loop: Header=BB0_92 Depth=1
	v_cmp_gt_i16_e64 s0, 0x57, s48
	s_delay_alu instid0(VALU_DEP_1)
	s_and_b32 vcc_lo, exec_lo, s0
	s_mov_b32 s0, -1
	s_cbranch_vccnz .LBB0_279
; %bb.274:                              ;   in Loop: Header=BB0_92 Depth=1
	v_cmp_ne_u16_e64 s0, 0x57, s48
	s_delay_alu instid0(VALU_DEP_1)
	s_and_b32 vcc_lo, exec_lo, s0
	s_mov_b32 s0, -1
	s_cbranch_vccz .LBB0_276
; %bb.275:                              ;   in Loop: Header=BB0_92 Depth=1
	v_mov_b32_e32 v31, v40
	s_add_u32 s8, s36, 0x1000
	s_addc_u32 s9, s37, 0
	s_mov_b64 s[4:5], s[38:39]
	s_mov_b64 s[10:11], s[34:35]
	s_mov_b32 s12, s41
	s_mov_b32 s13, s40
	;; [unrolled: 1-line block ×3, first 2 shown]
	s_getpc_b64 s[0:1]
	s_add_u32 s0, s0, _Z53ncclDevFunc_ReduceScatter_RING_LL_SumPostDiv_u8_0_0_1v@rel32@lo+4
	s_addc_u32 s1, s1, _Z53ncclDevFunc_ReduceScatter_RING_LL_SumPostDiv_u8_0_0_1v@rel32@hi+12
	s_delay_alu instid0(SALU_CYCLE_1)
	s_swappc_b64 s[30:31], s[0:1]
	s_mov_b32 s0, 0
.LBB0_276:                              ;   in Loop: Header=BB0_92 Depth=1
	s_delay_alu instid0(SALU_CYCLE_1)
	s_and_not1_b32 vcc_lo, exec_lo, s0
	s_cbranch_vccnz .LBB0_278
; %bb.277:                              ;   in Loop: Header=BB0_92 Depth=1
	v_mov_b32_e32 v31, v40
	s_add_u32 s8, s36, 0x1000
	s_addc_u32 s9, s37, 0
	s_mov_b64 s[4:5], s[38:39]
	s_mov_b64 s[10:11], s[34:35]
	s_mov_b32 s12, s41
	s_mov_b32 s13, s40
	;; [unrolled: 1-line block ×3, first 2 shown]
	s_getpc_b64 s[0:1]
	s_add_u32 s0, s0, _Z56ncclDevFunc_ReduceScatter_RING_LL_PreMulSum_f8e5m2_0_0_1v@rel32@lo+4
	s_addc_u32 s1, s1, _Z56ncclDevFunc_ReduceScatter_RING_LL_PreMulSum_f8e5m2_0_0_1v@rel32@hi+12
	s_delay_alu instid0(SALU_CYCLE_1)
	s_swappc_b64 s[30:31], s[0:1]
.LBB0_278:                              ;   in Loop: Header=BB0_92 Depth=1
	s_mov_b32 s0, 0
.LBB0_279:                              ;   in Loop: Header=BB0_92 Depth=1
	s_delay_alu instid0(SALU_CYCLE_1)
	s_and_not1_b32 vcc_lo, exec_lo, s0
	s_cbranch_vccnz .LBB0_281
; %bb.280:                              ;   in Loop: Header=BB0_92 Depth=1
	v_mov_b32_e32 v31, v40
	s_add_u32 s8, s36, 0x1000
	s_addc_u32 s9, s37, 0
	s_mov_b64 s[4:5], s[38:39]
	s_mov_b64 s[10:11], s[34:35]
	s_mov_b32 s12, s41
	s_mov_b32 s13, s40
	;; [unrolled: 1-line block ×3, first 2 shown]
	s_getpc_b64 s[0:1]
	s_add_u32 s0, s0, _Z56ncclDevFunc_ReduceScatter_RING_LL_PreMulSum_f8e4m3_0_0_1v@rel32@lo+4
	s_addc_u32 s1, s1, _Z56ncclDevFunc_ReduceScatter_RING_LL_PreMulSum_f8e4m3_0_0_1v@rel32@hi+12
	s_delay_alu instid0(SALU_CYCLE_1)
	s_swappc_b64 s[30:31], s[0:1]
.LBB0_281:                              ;   in Loop: Header=BB0_92 Depth=1
	s_mov_b32 s0, 0
.LBB0_282:                              ;   in Loop: Header=BB0_92 Depth=1
	s_delay_alu instid0(SALU_CYCLE_1)
	s_and_b32 vcc_lo, exec_lo, s0
	s_cbranch_vccz .LBB0_291
; %bb.283:                              ;   in Loop: Header=BB0_92 Depth=1
	v_cmp_gt_i16_e64 s0, 0x54, s48
	s_delay_alu instid0(VALU_DEP_1)
	s_and_b32 vcc_lo, exec_lo, s0
	s_mov_b32 s0, -1
	s_cbranch_vccnz .LBB0_289
; %bb.284:                              ;   in Loop: Header=BB0_92 Depth=1
	v_cmp_ne_u16_e64 s0, 0x54, s48
	s_delay_alu instid0(VALU_DEP_1)
	s_and_b32 vcc_lo, exec_lo, s0
	s_mov_b32 s0, -1
	s_cbranch_vccz .LBB0_286
; %bb.285:                              ;   in Loop: Header=BB0_92 Depth=1
	v_mov_b32_e32 v31, v40
	s_add_u32 s8, s36, 0x1000
	s_addc_u32 s9, s37, 0
	s_mov_b64 s[4:5], s[38:39]
	s_mov_b64 s[10:11], s[34:35]
	s_mov_b32 s12, s41
	s_mov_b32 s13, s40
	;; [unrolled: 1-line block ×3, first 2 shown]
	s_getpc_b64 s[0:1]
	s_add_u32 s0, s0, _Z54ncclDevFunc_ReduceScatter_RING_LL_PreMulSum_bf16_0_0_1v@rel32@lo+4
	s_addc_u32 s1, s1, _Z54ncclDevFunc_ReduceScatter_RING_LL_PreMulSum_bf16_0_0_1v@rel32@hi+12
	s_delay_alu instid0(SALU_CYCLE_1)
	s_swappc_b64 s[30:31], s[0:1]
	s_mov_b32 s0, 0
.LBB0_286:                              ;   in Loop: Header=BB0_92 Depth=1
	s_delay_alu instid0(SALU_CYCLE_1)
	s_and_not1_b32 vcc_lo, exec_lo, s0
	s_cbranch_vccnz .LBB0_288
; %bb.287:                              ;   in Loop: Header=BB0_92 Depth=1
	v_mov_b32_e32 v31, v40
	s_add_u32 s8, s36, 0x1000
	s_addc_u32 s9, s37, 0
	s_mov_b64 s[4:5], s[38:39]
	s_mov_b64 s[10:11], s[34:35]
	s_mov_b32 s12, s41
	s_mov_b32 s13, s40
	;; [unrolled: 1-line block ×3, first 2 shown]
	s_getpc_b64 s[0:1]
	s_add_u32 s0, s0, _Z53ncclDevFunc_ReduceScatter_RING_LL_PreMulSum_f64_0_0_1v@rel32@lo+4
	s_addc_u32 s1, s1, _Z53ncclDevFunc_ReduceScatter_RING_LL_PreMulSum_f64_0_0_1v@rel32@hi+12
	s_delay_alu instid0(SALU_CYCLE_1)
	s_swappc_b64 s[30:31], s[0:1]
.LBB0_288:                              ;   in Loop: Header=BB0_92 Depth=1
	s_mov_b32 s0, 0
.LBB0_289:                              ;   in Loop: Header=BB0_92 Depth=1
	s_delay_alu instid0(SALU_CYCLE_1)
	s_and_not1_b32 vcc_lo, exec_lo, s0
	s_cbranch_vccnz .LBB0_291
; %bb.290:                              ;   in Loop: Header=BB0_92 Depth=1
	v_mov_b32_e32 v31, v40
	s_add_u32 s8, s36, 0x1000
	s_addc_u32 s9, s37, 0
	s_mov_b64 s[4:5], s[38:39]
	s_mov_b64 s[10:11], s[34:35]
	s_mov_b32 s12, s41
	s_mov_b32 s13, s40
	;; [unrolled: 1-line block ×3, first 2 shown]
	s_getpc_b64 s[0:1]
	s_add_u32 s0, s0, _Z53ncclDevFunc_ReduceScatter_RING_LL_PreMulSum_f32_0_0_1v@rel32@lo+4
	s_addc_u32 s1, s1, _Z53ncclDevFunc_ReduceScatter_RING_LL_PreMulSum_f32_0_0_1v@rel32@hi+12
	s_delay_alu instid0(SALU_CYCLE_1)
	s_swappc_b64 s[30:31], s[0:1]
.LBB0_291:                              ;   in Loop: Header=BB0_92 Depth=1
	s_mov_b32 s0, 0
.LBB0_292:                              ;   in Loop: Header=BB0_92 Depth=1
	s_delay_alu instid0(SALU_CYCLE_1)
	s_and_not1_b32 vcc_lo, exec_lo, s0
	s_cbranch_vccnz .LBB0_312
; %bb.293:                              ;   in Loop: Header=BB0_92 Depth=1
	s_cmpk_gt_u32 s48, 0x4f
	s_mov_b32 s0, -1
	s_cbranch_scc0 .LBB0_303
; %bb.294:                              ;   in Loop: Header=BB0_92 Depth=1
	v_cmp_gt_i16_e64 s0, 0x51, s48
	s_delay_alu instid0(VALU_DEP_1)
	s_and_b32 vcc_lo, exec_lo, s0
	s_mov_b32 s0, -1
	s_cbranch_vccnz .LBB0_300
; %bb.295:                              ;   in Loop: Header=BB0_92 Depth=1
	v_cmp_ne_u16_e64 s0, 0x51, s48
	s_delay_alu instid0(VALU_DEP_1)
	s_and_b32 vcc_lo, exec_lo, s0
	s_mov_b32 s0, -1
	s_cbranch_vccz .LBB0_297
; %bb.296:                              ;   in Loop: Header=BB0_92 Depth=1
	v_mov_b32_e32 v31, v40
	s_add_u32 s8, s36, 0x1000
	s_addc_u32 s9, s37, 0
	s_mov_b64 s[4:5], s[38:39]
	s_mov_b64 s[10:11], s[34:35]
	s_mov_b32 s12, s41
	s_mov_b32 s13, s40
	;; [unrolled: 1-line block ×3, first 2 shown]
	s_getpc_b64 s[0:1]
	s_add_u32 s0, s0, _Z53ncclDevFunc_ReduceScatter_RING_LL_PreMulSum_f16_0_0_1v@rel32@lo+4
	s_addc_u32 s1, s1, _Z53ncclDevFunc_ReduceScatter_RING_LL_PreMulSum_f16_0_0_1v@rel32@hi+12
	s_delay_alu instid0(SALU_CYCLE_1)
	s_swappc_b64 s[30:31], s[0:1]
	s_mov_b32 s0, 0
.LBB0_297:                              ;   in Loop: Header=BB0_92 Depth=1
	s_delay_alu instid0(SALU_CYCLE_1)
	s_and_not1_b32 vcc_lo, exec_lo, s0
	s_cbranch_vccnz .LBB0_299
; %bb.298:                              ;   in Loop: Header=BB0_92 Depth=1
	v_mov_b32_e32 v31, v40
	s_add_u32 s8, s36, 0x1000
	s_addc_u32 s9, s37, 0
	s_mov_b64 s[4:5], s[38:39]
	s_mov_b64 s[10:11], s[34:35]
	s_mov_b32 s12, s41
	s_mov_b32 s13, s40
	;; [unrolled: 1-line block ×3, first 2 shown]
	s_getpc_b64 s[0:1]
	s_add_u32 s0, s0, _Z53ncclDevFunc_ReduceScatter_RING_LL_PreMulSum_u64_0_0_1v@rel32@lo+4
	s_addc_u32 s1, s1, _Z53ncclDevFunc_ReduceScatter_RING_LL_PreMulSum_u64_0_0_1v@rel32@hi+12
	s_delay_alu instid0(SALU_CYCLE_1)
	s_swappc_b64 s[30:31], s[0:1]
.LBB0_299:                              ;   in Loop: Header=BB0_92 Depth=1
	s_mov_b32 s0, 0
.LBB0_300:                              ;   in Loop: Header=BB0_92 Depth=1
	s_delay_alu instid0(SALU_CYCLE_1)
	s_and_not1_b32 vcc_lo, exec_lo, s0
	s_cbranch_vccnz .LBB0_302
; %bb.301:                              ;   in Loop: Header=BB0_92 Depth=1
	v_mov_b32_e32 v31, v40
	s_add_u32 s8, s36, 0x1000
	s_addc_u32 s9, s37, 0
	s_mov_b64 s[4:5], s[38:39]
	s_mov_b64 s[10:11], s[34:35]
	s_mov_b32 s12, s41
	s_mov_b32 s13, s40
	;; [unrolled: 1-line block ×3, first 2 shown]
	s_getpc_b64 s[0:1]
	s_add_u32 s0, s0, _Z53ncclDevFunc_ReduceScatter_RING_LL_PreMulSum_u32_0_0_1v@rel32@lo+4
	s_addc_u32 s1, s1, _Z53ncclDevFunc_ReduceScatter_RING_LL_PreMulSum_u32_0_0_1v@rel32@hi+12
	s_delay_alu instid0(SALU_CYCLE_1)
	s_swappc_b64 s[30:31], s[0:1]
.LBB0_302:                              ;   in Loop: Header=BB0_92 Depth=1
	s_mov_b32 s0, 0
.LBB0_303:                              ;   in Loop: Header=BB0_92 Depth=1
	s_delay_alu instid0(SALU_CYCLE_1)
	s_and_b32 vcc_lo, exec_lo, s0
	s_cbranch_vccz .LBB0_312
; %bb.304:                              ;   in Loop: Header=BB0_92 Depth=1
	v_cmp_gt_i16_e64 s0, 0x4e, s48
	s_delay_alu instid0(VALU_DEP_1)
	s_and_b32 vcc_lo, exec_lo, s0
	s_mov_b32 s0, -1
	s_cbranch_vccnz .LBB0_310
; %bb.305:                              ;   in Loop: Header=BB0_92 Depth=1
	v_cmp_ne_u16_e64 s0, 0x4e, s48
	s_delay_alu instid0(VALU_DEP_1)
	s_and_b32 vcc_lo, exec_lo, s0
	s_mov_b32 s0, -1
	s_cbranch_vccz .LBB0_307
; %bb.306:                              ;   in Loop: Header=BB0_92 Depth=1
	v_mov_b32_e32 v31, v40
	s_add_u32 s8, s36, 0x1000
	s_addc_u32 s9, s37, 0
	s_mov_b64 s[4:5], s[38:39]
	s_mov_b64 s[10:11], s[34:35]
	s_mov_b32 s12, s41
	s_mov_b32 s13, s40
	;; [unrolled: 1-line block ×3, first 2 shown]
	s_getpc_b64 s[0:1]
	s_add_u32 s0, s0, _Z52ncclDevFunc_ReduceScatter_RING_LL_PreMulSum_u8_0_0_1v@rel32@lo+4
	s_addc_u32 s1, s1, _Z52ncclDevFunc_ReduceScatter_RING_LL_PreMulSum_u8_0_0_1v@rel32@hi+12
	s_delay_alu instid0(SALU_CYCLE_1)
	s_swappc_b64 s[30:31], s[0:1]
	s_mov_b32 s0, 0
.LBB0_307:                              ;   in Loop: Header=BB0_92 Depth=1
	s_delay_alu instid0(SALU_CYCLE_1)
	s_and_not1_b32 vcc_lo, exec_lo, s0
	s_cbranch_vccnz .LBB0_309
; %bb.308:                              ;   in Loop: Header=BB0_92 Depth=1
	v_mov_b32_e32 v31, v40
	s_add_u32 s8, s36, 0x1000
	s_addc_u32 s9, s37, 0
	s_mov_b64 s[4:5], s[38:39]
	s_mov_b64 s[10:11], s[34:35]
	s_mov_b32 s12, s41
	s_mov_b32 s13, s40
	;; [unrolled: 1-line block ×3, first 2 shown]
	s_getpc_b64 s[0:1]
	s_add_u32 s0, s0, _Z53ncclDevFunc_ReduceScatter_RING_LL_MinMax_f8e5m2_0_0_1v@rel32@lo+4
	s_addc_u32 s1, s1, _Z53ncclDevFunc_ReduceScatter_RING_LL_MinMax_f8e5m2_0_0_1v@rel32@hi+12
	s_delay_alu instid0(SALU_CYCLE_1)
	s_swappc_b64 s[30:31], s[0:1]
.LBB0_309:                              ;   in Loop: Header=BB0_92 Depth=1
	s_mov_b32 s0, 0
.LBB0_310:                              ;   in Loop: Header=BB0_92 Depth=1
	s_delay_alu instid0(SALU_CYCLE_1)
	s_and_not1_b32 vcc_lo, exec_lo, s0
	s_cbranch_vccnz .LBB0_312
; %bb.311:                              ;   in Loop: Header=BB0_92 Depth=1
	v_mov_b32_e32 v31, v40
	s_add_u32 s8, s36, 0x1000
	s_addc_u32 s9, s37, 0
	s_mov_b64 s[4:5], s[38:39]
	s_mov_b64 s[10:11], s[34:35]
	s_mov_b32 s12, s41
	s_mov_b32 s13, s40
	;; [unrolled: 1-line block ×3, first 2 shown]
	s_getpc_b64 s[0:1]
	s_add_u32 s0, s0, _Z53ncclDevFunc_ReduceScatter_RING_LL_MinMax_f8e4m3_0_0_1v@rel32@lo+4
	s_addc_u32 s1, s1, _Z53ncclDevFunc_ReduceScatter_RING_LL_MinMax_f8e4m3_0_0_1v@rel32@hi+12
	s_delay_alu instid0(SALU_CYCLE_1)
	s_swappc_b64 s[30:31], s[0:1]
.LBB0_312:                              ;   in Loop: Header=BB0_92 Depth=1
	s_mov_b32 s0, 0
.LBB0_313:                              ;   in Loop: Header=BB0_92 Depth=1
	s_delay_alu instid0(SALU_CYCLE_1)
	s_and_not1_b32 vcc_lo, exec_lo, s0
	s_cbranch_vccnz .LBB0_351
; %bb.314:                              ;   in Loop: Header=BB0_92 Depth=1
	s_cmpk_gt_u32 s48, 0x46
	s_mov_b32 s0, -1
	s_cbranch_scc0 .LBB0_335
; %bb.315:                              ;   in Loop: Header=BB0_92 Depth=1
	s_cmpk_gt_u32 s48, 0x49
	s_cbranch_scc0 .LBB0_325
; %bb.316:                              ;   in Loop: Header=BB0_92 Depth=1
	v_cmp_gt_i16_e64 s0, 0x4b, s48
	s_delay_alu instid0(VALU_DEP_1)
	s_and_b32 vcc_lo, exec_lo, s0
	s_mov_b32 s0, -1
	s_cbranch_vccnz .LBB0_322
; %bb.317:                              ;   in Loop: Header=BB0_92 Depth=1
	v_cmp_ne_u16_e64 s0, 0x4b, s48
	s_delay_alu instid0(VALU_DEP_1)
	s_and_b32 vcc_lo, exec_lo, s0
	s_mov_b32 s0, -1
	s_cbranch_vccz .LBB0_319
; %bb.318:                              ;   in Loop: Header=BB0_92 Depth=1
	v_mov_b32_e32 v31, v40
	s_add_u32 s8, s36, 0x1000
	s_addc_u32 s9, s37, 0
	s_mov_b64 s[4:5], s[38:39]
	s_mov_b64 s[10:11], s[34:35]
	s_mov_b32 s12, s41
	s_mov_b32 s13, s40
	;; [unrolled: 1-line block ×3, first 2 shown]
	s_getpc_b64 s[0:1]
	s_add_u32 s0, s0, _Z51ncclDevFunc_ReduceScatter_RING_LL_MinMax_bf16_0_0_1v@rel32@lo+4
	s_addc_u32 s1, s1, _Z51ncclDevFunc_ReduceScatter_RING_LL_MinMax_bf16_0_0_1v@rel32@hi+12
	s_delay_alu instid0(SALU_CYCLE_1)
	s_swappc_b64 s[30:31], s[0:1]
	s_mov_b32 s0, 0
.LBB0_319:                              ;   in Loop: Header=BB0_92 Depth=1
	s_delay_alu instid0(SALU_CYCLE_1)
	s_and_not1_b32 vcc_lo, exec_lo, s0
	s_cbranch_vccnz .LBB0_321
; %bb.320:                              ;   in Loop: Header=BB0_92 Depth=1
	v_mov_b32_e32 v31, v40
	s_add_u32 s8, s36, 0x1000
	s_addc_u32 s9, s37, 0
	s_mov_b64 s[4:5], s[38:39]
	s_mov_b64 s[10:11], s[34:35]
	s_mov_b32 s12, s41
	s_mov_b32 s13, s40
	;; [unrolled: 1-line block ×3, first 2 shown]
	s_getpc_b64 s[0:1]
	s_add_u32 s0, s0, _Z50ncclDevFunc_ReduceScatter_RING_LL_MinMax_f64_0_0_1v@rel32@lo+4
	s_addc_u32 s1, s1, _Z50ncclDevFunc_ReduceScatter_RING_LL_MinMax_f64_0_0_1v@rel32@hi+12
	s_delay_alu instid0(SALU_CYCLE_1)
	s_swappc_b64 s[30:31], s[0:1]
.LBB0_321:                              ;   in Loop: Header=BB0_92 Depth=1
	s_mov_b32 s0, 0
.LBB0_322:                              ;   in Loop: Header=BB0_92 Depth=1
	s_delay_alu instid0(SALU_CYCLE_1)
	s_and_not1_b32 vcc_lo, exec_lo, s0
	s_cbranch_vccnz .LBB0_324
; %bb.323:                              ;   in Loop: Header=BB0_92 Depth=1
	v_mov_b32_e32 v31, v40
	s_add_u32 s8, s36, 0x1000
	s_addc_u32 s9, s37, 0
	s_mov_b64 s[4:5], s[38:39]
	s_mov_b64 s[10:11], s[34:35]
	s_mov_b32 s12, s41
	s_mov_b32 s13, s40
	;; [unrolled: 1-line block ×3, first 2 shown]
	s_getpc_b64 s[0:1]
	s_add_u32 s0, s0, _Z50ncclDevFunc_ReduceScatter_RING_LL_MinMax_f32_0_0_1v@rel32@lo+4
	s_addc_u32 s1, s1, _Z50ncclDevFunc_ReduceScatter_RING_LL_MinMax_f32_0_0_1v@rel32@hi+12
	s_delay_alu instid0(SALU_CYCLE_1)
	s_swappc_b64 s[30:31], s[0:1]
.LBB0_324:                              ;   in Loop: Header=BB0_92 Depth=1
	s_mov_b32 s0, 0
.LBB0_325:                              ;   in Loop: Header=BB0_92 Depth=1
	s_delay_alu instid0(SALU_CYCLE_1)
	s_and_b32 vcc_lo, exec_lo, s0
	s_cbranch_vccz .LBB0_334
; %bb.326:                              ;   in Loop: Header=BB0_92 Depth=1
	v_cmp_gt_i16_e64 s0, 0x48, s48
	s_delay_alu instid0(VALU_DEP_1)
	s_and_b32 vcc_lo, exec_lo, s0
	s_mov_b32 s0, -1
	s_cbranch_vccnz .LBB0_332
; %bb.327:                              ;   in Loop: Header=BB0_92 Depth=1
	v_cmp_ne_u16_e64 s0, 0x48, s48
	s_delay_alu instid0(VALU_DEP_1)
	s_and_b32 vcc_lo, exec_lo, s0
	s_mov_b32 s0, -1
	s_cbranch_vccz .LBB0_329
; %bb.328:                              ;   in Loop: Header=BB0_92 Depth=1
	v_mov_b32_e32 v31, v40
	s_add_u32 s8, s36, 0x1000
	s_addc_u32 s9, s37, 0
	s_mov_b64 s[4:5], s[38:39]
	s_mov_b64 s[10:11], s[34:35]
	s_mov_b32 s12, s41
	s_mov_b32 s13, s40
	;; [unrolled: 1-line block ×3, first 2 shown]
	s_getpc_b64 s[0:1]
	s_add_u32 s0, s0, _Z50ncclDevFunc_ReduceScatter_RING_LL_MinMax_f16_0_0_1v@rel32@lo+4
	s_addc_u32 s1, s1, _Z50ncclDevFunc_ReduceScatter_RING_LL_MinMax_f16_0_0_1v@rel32@hi+12
	s_delay_alu instid0(SALU_CYCLE_1)
	s_swappc_b64 s[30:31], s[0:1]
	s_mov_b32 s0, 0
.LBB0_329:                              ;   in Loop: Header=BB0_92 Depth=1
	s_delay_alu instid0(SALU_CYCLE_1)
	s_and_not1_b32 vcc_lo, exec_lo, s0
	s_cbranch_vccnz .LBB0_331
; %bb.330:                              ;   in Loop: Header=BB0_92 Depth=1
	v_mov_b32_e32 v31, v40
	s_add_u32 s8, s36, 0x1000
	s_addc_u32 s9, s37, 0
	s_mov_b64 s[4:5], s[38:39]
	s_mov_b64 s[10:11], s[34:35]
	s_mov_b32 s12, s41
	s_mov_b32 s13, s40
	;; [unrolled: 1-line block ×3, first 2 shown]
	s_getpc_b64 s[0:1]
	s_add_u32 s0, s0, _Z50ncclDevFunc_ReduceScatter_RING_LL_MinMax_u64_0_0_1v@rel32@lo+4
	s_addc_u32 s1, s1, _Z50ncclDevFunc_ReduceScatter_RING_LL_MinMax_u64_0_0_1v@rel32@hi+12
	s_delay_alu instid0(SALU_CYCLE_1)
	s_swappc_b64 s[30:31], s[0:1]
.LBB0_331:                              ;   in Loop: Header=BB0_92 Depth=1
	s_mov_b32 s0, 0
.LBB0_332:                              ;   in Loop: Header=BB0_92 Depth=1
	s_delay_alu instid0(SALU_CYCLE_1)
	s_and_not1_b32 vcc_lo, exec_lo, s0
	s_cbranch_vccnz .LBB0_334
; %bb.333:                              ;   in Loop: Header=BB0_92 Depth=1
	v_mov_b32_e32 v31, v40
	s_add_u32 s8, s36, 0x1000
	s_addc_u32 s9, s37, 0
	s_mov_b64 s[4:5], s[38:39]
	s_mov_b64 s[10:11], s[34:35]
	s_mov_b32 s12, s41
	s_mov_b32 s13, s40
	;; [unrolled: 1-line block ×3, first 2 shown]
	s_getpc_b64 s[0:1]
	s_add_u32 s0, s0, _Z50ncclDevFunc_ReduceScatter_RING_LL_MinMax_u32_0_0_1v@rel32@lo+4
	s_addc_u32 s1, s1, _Z50ncclDevFunc_ReduceScatter_RING_LL_MinMax_u32_0_0_1v@rel32@hi+12
	s_delay_alu instid0(SALU_CYCLE_1)
	s_swappc_b64 s[30:31], s[0:1]
.LBB0_334:                              ;   in Loop: Header=BB0_92 Depth=1
	s_mov_b32 s0, 0
.LBB0_335:                              ;   in Loop: Header=BB0_92 Depth=1
	s_delay_alu instid0(SALU_CYCLE_1)
	s_and_not1_b32 vcc_lo, exec_lo, s0
	s_cbranch_vccnz .LBB0_351
; %bb.336:                              ;   in Loop: Header=BB0_92 Depth=1
	s_cmpk_gt_u32 s48, 0x43
	s_mov_b32 s0, -1
	s_cbranch_scc0 .LBB0_346
; %bb.337:                              ;   in Loop: Header=BB0_92 Depth=1
	v_cmp_gt_i16_e64 s0, 0x45, s48
	s_delay_alu instid0(VALU_DEP_1)
	s_and_b32 vcc_lo, exec_lo, s0
	s_mov_b32 s0, -1
	s_cbranch_vccnz .LBB0_343
; %bb.338:                              ;   in Loop: Header=BB0_92 Depth=1
	v_cmp_ne_u16_e64 s0, 0x45, s48
	s_delay_alu instid0(VALU_DEP_1)
	s_and_b32 vcc_lo, exec_lo, s0
	s_mov_b32 s0, -1
	s_cbranch_vccz .LBB0_340
; %bb.339:                              ;   in Loop: Header=BB0_92 Depth=1
	v_mov_b32_e32 v31, v40
	s_add_u32 s8, s36, 0x1000
	s_addc_u32 s9, s37, 0
	s_mov_b64 s[4:5], s[38:39]
	s_mov_b64 s[10:11], s[34:35]
	s_mov_b32 s12, s41
	s_mov_b32 s13, s40
	;; [unrolled: 1-line block ×3, first 2 shown]
	s_getpc_b64 s[0:1]
	s_add_u32 s0, s0, _Z49ncclDevFunc_ReduceScatter_RING_LL_MinMax_u8_0_0_1v@rel32@lo+4
	s_addc_u32 s1, s1, _Z49ncclDevFunc_ReduceScatter_RING_LL_MinMax_u8_0_0_1v@rel32@hi+12
	s_delay_alu instid0(SALU_CYCLE_1)
	s_swappc_b64 s[30:31], s[0:1]
	s_mov_b32 s0, 0
.LBB0_340:                              ;   in Loop: Header=BB0_92 Depth=1
	s_delay_alu instid0(SALU_CYCLE_1)
	s_and_not1_b32 vcc_lo, exec_lo, s0
	s_cbranch_vccnz .LBB0_342
; %bb.341:                              ;   in Loop: Header=BB0_92 Depth=1
	v_mov_b32_e32 v31, v40
	s_add_u32 s8, s36, 0x1000
	s_addc_u32 s9, s37, 0
	s_mov_b64 s[4:5], s[38:39]
	s_mov_b64 s[10:11], s[34:35]
	s_mov_b32 s12, s41
	s_mov_b32 s13, s40
	;; [unrolled: 1-line block ×3, first 2 shown]
	s_getpc_b64 s[0:1]
	s_add_u32 s0, s0, _Z51ncclDevFunc_ReduceScatter_RING_LL_Prod_f8e5m2_0_0_1v@rel32@lo+4
	s_addc_u32 s1, s1, _Z51ncclDevFunc_ReduceScatter_RING_LL_Prod_f8e5m2_0_0_1v@rel32@hi+12
	s_delay_alu instid0(SALU_CYCLE_1)
	s_swappc_b64 s[30:31], s[0:1]
.LBB0_342:                              ;   in Loop: Header=BB0_92 Depth=1
	s_mov_b32 s0, 0
.LBB0_343:                              ;   in Loop: Header=BB0_92 Depth=1
	s_delay_alu instid0(SALU_CYCLE_1)
	s_and_not1_b32 vcc_lo, exec_lo, s0
	s_cbranch_vccnz .LBB0_345
; %bb.344:                              ;   in Loop: Header=BB0_92 Depth=1
	v_mov_b32_e32 v31, v40
	s_add_u32 s8, s36, 0x1000
	s_addc_u32 s9, s37, 0
	s_mov_b64 s[4:5], s[38:39]
	s_mov_b64 s[10:11], s[34:35]
	s_mov_b32 s12, s41
	s_mov_b32 s13, s40
	;; [unrolled: 1-line block ×3, first 2 shown]
	s_getpc_b64 s[0:1]
	s_add_u32 s0, s0, _Z51ncclDevFunc_ReduceScatter_RING_LL_Prod_f8e4m3_0_0_1v@rel32@lo+4
	s_addc_u32 s1, s1, _Z51ncclDevFunc_ReduceScatter_RING_LL_Prod_f8e4m3_0_0_1v@rel32@hi+12
	s_delay_alu instid0(SALU_CYCLE_1)
	s_swappc_b64 s[30:31], s[0:1]
.LBB0_345:                              ;   in Loop: Header=BB0_92 Depth=1
	s_mov_b32 s0, 0
.LBB0_346:                              ;   in Loop: Header=BB0_92 Depth=1
	s_delay_alu instid0(SALU_CYCLE_1)
	s_and_b32 vcc_lo, exec_lo, s0
	s_cbranch_vccz .LBB0_351
; %bb.347:                              ;   in Loop: Header=BB0_92 Depth=1
	s_cmpk_eq_i32 s48, 0x43
	s_mov_b32 s0, -1
	s_cbranch_scc1 .LBB0_349
; %bb.348:                              ;   in Loop: Header=BB0_92 Depth=1
	v_mov_b32_e32 v31, v40
	s_add_u32 s8, s36, 0x1000
	s_addc_u32 s9, s37, 0
	s_mov_b64 s[4:5], s[38:39]
	s_mov_b64 s[10:11], s[34:35]
	s_mov_b32 s12, s41
	s_mov_b32 s13, s40
	;; [unrolled: 1-line block ×3, first 2 shown]
	s_getpc_b64 s[0:1]
	s_add_u32 s0, s0, _Z48ncclDevFunc_ReduceScatter_RING_LL_Prod_f64_0_0_1v@rel32@lo+4
	s_addc_u32 s1, s1, _Z48ncclDevFunc_ReduceScatter_RING_LL_Prod_f64_0_0_1v@rel32@hi+12
	s_delay_alu instid0(SALU_CYCLE_1)
	s_swappc_b64 s[30:31], s[0:1]
	s_mov_b32 s0, 0
.LBB0_349:                              ;   in Loop: Header=BB0_92 Depth=1
	s_delay_alu instid0(SALU_CYCLE_1)
	s_and_not1_b32 vcc_lo, exec_lo, s0
	s_cbranch_vccnz .LBB0_351
; %bb.350:                              ;   in Loop: Header=BB0_92 Depth=1
	v_mov_b32_e32 v31, v40
	s_add_u32 s8, s36, 0x1000
	s_addc_u32 s9, s37, 0
	s_mov_b64 s[4:5], s[38:39]
	s_mov_b64 s[10:11], s[34:35]
	s_mov_b32 s12, s41
	s_mov_b32 s13, s40
	;; [unrolled: 1-line block ×3, first 2 shown]
	s_getpc_b64 s[0:1]
	s_add_u32 s0, s0, _Z49ncclDevFunc_ReduceScatter_RING_LL_Prod_bf16_0_0_1v@rel32@lo+4
	s_addc_u32 s1, s1, _Z49ncclDevFunc_ReduceScatter_RING_LL_Prod_bf16_0_0_1v@rel32@hi+12
	s_delay_alu instid0(SALU_CYCLE_1)
	s_swappc_b64 s[30:31], s[0:1]
.LBB0_351:                              ;   in Loop: Header=BB0_92 Depth=1
	s_mov_b32 s0, 0
.LBB0_352:                              ;   in Loop: Header=BB0_92 Depth=1
	s_delay_alu instid0(SALU_CYCLE_1)
	s_and_not1_b32 vcc_lo, exec_lo, s0
	s_cbranch_vccnz .LBB0_422
; %bb.353:                              ;   in Loop: Header=BB0_92 Depth=1
	s_cmp_gt_u32 s48, 54
	s_mov_b32 s0, -1
	s_cbranch_scc0 .LBB0_392
; %bb.354:                              ;   in Loop: Header=BB0_92 Depth=1
	s_cmp_gt_u32 s48, 59
	s_cbranch_scc0 .LBB0_375
; %bb.355:                              ;   in Loop: Header=BB0_92 Depth=1
	s_cmp_gt_u32 s48, 62
	s_cbranch_scc0 .LBB0_365
; %bb.356:                              ;   in Loop: Header=BB0_92 Depth=1
	v_cmp_lt_i16_e64 s0, s48, 64
	s_delay_alu instid0(VALU_DEP_1)
	s_and_b32 vcc_lo, exec_lo, s0
	s_mov_b32 s0, -1
	s_cbranch_vccnz .LBB0_362
; %bb.357:                              ;   in Loop: Header=BB0_92 Depth=1
	v_cmp_ne_u16_e64 s0, s48, 64
	s_delay_alu instid0(VALU_DEP_1)
	s_and_b32 vcc_lo, exec_lo, s0
	s_mov_b32 s0, -1
	s_cbranch_vccz .LBB0_359
; %bb.358:                              ;   in Loop: Header=BB0_92 Depth=1
	v_mov_b32_e32 v31, v40
	s_add_u32 s8, s36, 0x1000
	s_addc_u32 s9, s37, 0
	s_mov_b64 s[4:5], s[38:39]
	s_mov_b64 s[10:11], s[34:35]
	s_mov_b32 s12, s41
	s_mov_b32 s13, s40
	;; [unrolled: 1-line block ×3, first 2 shown]
	s_getpc_b64 s[0:1]
	s_add_u32 s0, s0, _Z48ncclDevFunc_ReduceScatter_RING_LL_Prod_f32_0_0_1v@rel32@lo+4
	s_addc_u32 s1, s1, _Z48ncclDevFunc_ReduceScatter_RING_LL_Prod_f32_0_0_1v@rel32@hi+12
	s_delay_alu instid0(SALU_CYCLE_1)
	s_swappc_b64 s[30:31], s[0:1]
	s_mov_b32 s0, 0
.LBB0_359:                              ;   in Loop: Header=BB0_92 Depth=1
	s_delay_alu instid0(SALU_CYCLE_1)
	s_and_not1_b32 vcc_lo, exec_lo, s0
	s_cbranch_vccnz .LBB0_361
; %bb.360:                              ;   in Loop: Header=BB0_92 Depth=1
	v_mov_b32_e32 v31, v40
	s_add_u32 s8, s36, 0x1000
	s_addc_u32 s9, s37, 0
	s_mov_b64 s[4:5], s[38:39]
	s_mov_b64 s[10:11], s[34:35]
	s_mov_b32 s12, s41
	s_mov_b32 s13, s40
	;; [unrolled: 1-line block ×3, first 2 shown]
	s_getpc_b64 s[0:1]
	s_add_u32 s0, s0, _Z48ncclDevFunc_ReduceScatter_RING_LL_Prod_f16_0_0_1v@rel32@lo+4
	s_addc_u32 s1, s1, _Z48ncclDevFunc_ReduceScatter_RING_LL_Prod_f16_0_0_1v@rel32@hi+12
	s_delay_alu instid0(SALU_CYCLE_1)
	s_swappc_b64 s[30:31], s[0:1]
.LBB0_361:                              ;   in Loop: Header=BB0_92 Depth=1
	s_mov_b32 s0, 0
.LBB0_362:                              ;   in Loop: Header=BB0_92 Depth=1
	s_delay_alu instid0(SALU_CYCLE_1)
	s_and_not1_b32 vcc_lo, exec_lo, s0
	s_cbranch_vccnz .LBB0_364
; %bb.363:                              ;   in Loop: Header=BB0_92 Depth=1
	v_mov_b32_e32 v31, v40
	s_add_u32 s8, s36, 0x1000
	s_addc_u32 s9, s37, 0
	s_mov_b64 s[4:5], s[38:39]
	s_mov_b64 s[10:11], s[34:35]
	s_mov_b32 s12, s41
	s_mov_b32 s13, s40
	;; [unrolled: 1-line block ×3, first 2 shown]
	s_getpc_b64 s[0:1]
	s_add_u32 s0, s0, _Z48ncclDevFunc_ReduceScatter_RING_LL_Prod_u64_0_0_1v@rel32@lo+4
	s_addc_u32 s1, s1, _Z48ncclDevFunc_ReduceScatter_RING_LL_Prod_u64_0_0_1v@rel32@hi+12
	s_delay_alu instid0(SALU_CYCLE_1)
	s_swappc_b64 s[30:31], s[0:1]
.LBB0_364:                              ;   in Loop: Header=BB0_92 Depth=1
	s_mov_b32 s0, 0
.LBB0_365:                              ;   in Loop: Header=BB0_92 Depth=1
	s_delay_alu instid0(SALU_CYCLE_1)
	s_and_b32 vcc_lo, exec_lo, s0
	s_cbranch_vccz .LBB0_374
; %bb.366:                              ;   in Loop: Header=BB0_92 Depth=1
	v_cmp_lt_i16_e64 s0, s48, 61
	s_delay_alu instid0(VALU_DEP_1)
	s_and_b32 vcc_lo, exec_lo, s0
	s_mov_b32 s0, -1
	s_cbranch_vccnz .LBB0_372
; %bb.367:                              ;   in Loop: Header=BB0_92 Depth=1
	v_cmp_ne_u16_e64 s0, s48, 61
	s_delay_alu instid0(VALU_DEP_1)
	s_and_b32 vcc_lo, exec_lo, s0
	s_mov_b32 s0, -1
	s_cbranch_vccz .LBB0_369
; %bb.368:                              ;   in Loop: Header=BB0_92 Depth=1
	v_mov_b32_e32 v31, v40
	s_add_u32 s8, s36, 0x1000
	s_addc_u32 s9, s37, 0
	s_mov_b64 s[4:5], s[38:39]
	s_mov_b64 s[10:11], s[34:35]
	s_mov_b32 s12, s41
	s_mov_b32 s13, s40
	;; [unrolled: 1-line block ×3, first 2 shown]
	s_getpc_b64 s[0:1]
	s_add_u32 s0, s0, _Z48ncclDevFunc_ReduceScatter_RING_LL_Prod_u32_0_0_1v@rel32@lo+4
	s_addc_u32 s1, s1, _Z48ncclDevFunc_ReduceScatter_RING_LL_Prod_u32_0_0_1v@rel32@hi+12
	s_delay_alu instid0(SALU_CYCLE_1)
	s_swappc_b64 s[30:31], s[0:1]
	s_mov_b32 s0, 0
.LBB0_369:                              ;   in Loop: Header=BB0_92 Depth=1
	s_delay_alu instid0(SALU_CYCLE_1)
	s_and_not1_b32 vcc_lo, exec_lo, s0
	s_cbranch_vccnz .LBB0_371
; %bb.370:                              ;   in Loop: Header=BB0_92 Depth=1
	v_mov_b32_e32 v31, v40
	s_add_u32 s8, s36, 0x1000
	s_addc_u32 s9, s37, 0
	s_mov_b64 s[4:5], s[38:39]
	s_mov_b64 s[10:11], s[34:35]
	s_mov_b32 s12, s41
	s_mov_b32 s13, s40
	;; [unrolled: 1-line block ×3, first 2 shown]
	s_getpc_b64 s[0:1]
	s_add_u32 s0, s0, _Z47ncclDevFunc_ReduceScatter_RING_LL_Prod_u8_0_0_1v@rel32@lo+4
	s_addc_u32 s1, s1, _Z47ncclDevFunc_ReduceScatter_RING_LL_Prod_u8_0_0_1v@rel32@hi+12
	s_delay_alu instid0(SALU_CYCLE_1)
	s_swappc_b64 s[30:31], s[0:1]
.LBB0_371:                              ;   in Loop: Header=BB0_92 Depth=1
	s_mov_b32 s0, 0
.LBB0_372:                              ;   in Loop: Header=BB0_92 Depth=1
	s_delay_alu instid0(SALU_CYCLE_1)
	s_and_not1_b32 vcc_lo, exec_lo, s0
	s_cbranch_vccnz .LBB0_374
; %bb.373:                              ;   in Loop: Header=BB0_92 Depth=1
	v_mov_b32_e32 v31, v40
	s_add_u32 s8, s36, 0x1000
	s_addc_u32 s9, s37, 0
	s_mov_b64 s[4:5], s[38:39]
	s_mov_b64 s[10:11], s[34:35]
	s_mov_b32 s12, s41
	s_mov_b32 s13, s40
	;; [unrolled: 1-line block ×3, first 2 shown]
	s_getpc_b64 s[0:1]
	s_add_u32 s0, s0, _Z50ncclDevFunc_ReduceScatter_RING_LL_Sum_f8e5m2_0_0_1v@rel32@lo+4
	s_addc_u32 s1, s1, _Z50ncclDevFunc_ReduceScatter_RING_LL_Sum_f8e5m2_0_0_1v@rel32@hi+12
	s_delay_alu instid0(SALU_CYCLE_1)
	s_swappc_b64 s[30:31], s[0:1]
.LBB0_374:                              ;   in Loop: Header=BB0_92 Depth=1
	s_mov_b32 s0, 0
.LBB0_375:                              ;   in Loop: Header=BB0_92 Depth=1
	s_delay_alu instid0(SALU_CYCLE_1)
	s_and_not1_b32 vcc_lo, exec_lo, s0
	s_cbranch_vccnz .LBB0_391
; %bb.376:                              ;   in Loop: Header=BB0_92 Depth=1
	s_cmp_gt_u32 s48, 56
	s_mov_b32 s0, -1
	s_cbranch_scc0 .LBB0_386
; %bb.377:                              ;   in Loop: Header=BB0_92 Depth=1
	v_cmp_lt_i16_e64 s0, s48, 58
	s_delay_alu instid0(VALU_DEP_1)
	s_and_b32 vcc_lo, exec_lo, s0
	s_mov_b32 s0, -1
	s_cbranch_vccnz .LBB0_383
; %bb.378:                              ;   in Loop: Header=BB0_92 Depth=1
	v_cmp_ne_u16_e64 s0, s48, 58
	s_delay_alu instid0(VALU_DEP_1)
	s_and_b32 vcc_lo, exec_lo, s0
	s_mov_b32 s0, -1
	s_cbranch_vccz .LBB0_380
; %bb.379:                              ;   in Loop: Header=BB0_92 Depth=1
	v_mov_b32_e32 v31, v40
	s_add_u32 s8, s36, 0x1000
	s_addc_u32 s9, s37, 0
	s_mov_b64 s[4:5], s[38:39]
	s_mov_b64 s[10:11], s[34:35]
	s_mov_b32 s12, s41
	s_mov_b32 s13, s40
	;; [unrolled: 1-line block ×3, first 2 shown]
	s_getpc_b64 s[0:1]
	s_add_u32 s0, s0, _Z50ncclDevFunc_ReduceScatter_RING_LL_Sum_f8e4m3_0_0_1v@rel32@lo+4
	s_addc_u32 s1, s1, _Z50ncclDevFunc_ReduceScatter_RING_LL_Sum_f8e4m3_0_0_1v@rel32@hi+12
	s_delay_alu instid0(SALU_CYCLE_1)
	s_swappc_b64 s[30:31], s[0:1]
	s_mov_b32 s0, 0
.LBB0_380:                              ;   in Loop: Header=BB0_92 Depth=1
	s_delay_alu instid0(SALU_CYCLE_1)
	s_and_not1_b32 vcc_lo, exec_lo, s0
	s_cbranch_vccnz .LBB0_382
; %bb.381:                              ;   in Loop: Header=BB0_92 Depth=1
	v_mov_b32_e32 v31, v40
	s_add_u32 s8, s36, 0x1000
	s_addc_u32 s9, s37, 0
	s_mov_b64 s[4:5], s[38:39]
	s_mov_b64 s[10:11], s[34:35]
	s_mov_b32 s12, s41
	s_mov_b32 s13, s40
	;; [unrolled: 1-line block ×3, first 2 shown]
	s_getpc_b64 s[0:1]
	s_add_u32 s0, s0, _Z48ncclDevFunc_ReduceScatter_RING_LL_Sum_bf16_0_0_1v@rel32@lo+4
	s_addc_u32 s1, s1, _Z48ncclDevFunc_ReduceScatter_RING_LL_Sum_bf16_0_0_1v@rel32@hi+12
	s_delay_alu instid0(SALU_CYCLE_1)
	s_swappc_b64 s[30:31], s[0:1]
.LBB0_382:                              ;   in Loop: Header=BB0_92 Depth=1
	s_mov_b32 s0, 0
.LBB0_383:                              ;   in Loop: Header=BB0_92 Depth=1
	s_delay_alu instid0(SALU_CYCLE_1)
	s_and_not1_b32 vcc_lo, exec_lo, s0
	s_cbranch_vccnz .LBB0_385
; %bb.384:                              ;   in Loop: Header=BB0_92 Depth=1
	v_mov_b32_e32 v31, v40
	s_add_u32 s8, s36, 0x1000
	s_addc_u32 s9, s37, 0
	s_mov_b64 s[4:5], s[38:39]
	s_mov_b64 s[10:11], s[34:35]
	s_mov_b32 s12, s41
	s_mov_b32 s13, s40
	;; [unrolled: 1-line block ×3, first 2 shown]
	s_getpc_b64 s[0:1]
	s_add_u32 s0, s0, _Z47ncclDevFunc_ReduceScatter_RING_LL_Sum_f64_0_0_1v@rel32@lo+4
	s_addc_u32 s1, s1, _Z47ncclDevFunc_ReduceScatter_RING_LL_Sum_f64_0_0_1v@rel32@hi+12
	s_delay_alu instid0(SALU_CYCLE_1)
	s_swappc_b64 s[30:31], s[0:1]
.LBB0_385:                              ;   in Loop: Header=BB0_92 Depth=1
	s_mov_b32 s0, 0
.LBB0_386:                              ;   in Loop: Header=BB0_92 Depth=1
	s_delay_alu instid0(SALU_CYCLE_1)
	s_and_b32 vcc_lo, exec_lo, s0
	s_cbranch_vccz .LBB0_391
; %bb.387:                              ;   in Loop: Header=BB0_92 Depth=1
	s_cmp_eq_u32 s48, 56
	s_mov_b32 s0, -1
	s_cbranch_scc1 .LBB0_389
; %bb.388:                              ;   in Loop: Header=BB0_92 Depth=1
	v_mov_b32_e32 v31, v40
	s_add_u32 s8, s36, 0x1000
	s_addc_u32 s9, s37, 0
	s_mov_b64 s[4:5], s[38:39]
	s_mov_b64 s[10:11], s[34:35]
	s_mov_b32 s12, s41
	s_mov_b32 s13, s40
	s_mov_b32 s14, s33
	s_getpc_b64 s[0:1]
	s_add_u32 s0, s0, _Z47ncclDevFunc_ReduceScatter_RING_LL_Sum_f16_0_0_1v@rel32@lo+4
	s_addc_u32 s1, s1, _Z47ncclDevFunc_ReduceScatter_RING_LL_Sum_f16_0_0_1v@rel32@hi+12
	s_delay_alu instid0(SALU_CYCLE_1)
	s_swappc_b64 s[30:31], s[0:1]
	s_mov_b32 s0, 0
.LBB0_389:                              ;   in Loop: Header=BB0_92 Depth=1
	s_delay_alu instid0(SALU_CYCLE_1)
	s_and_not1_b32 vcc_lo, exec_lo, s0
	s_cbranch_vccnz .LBB0_391
; %bb.390:                              ;   in Loop: Header=BB0_92 Depth=1
	v_mov_b32_e32 v31, v40
	s_add_u32 s8, s36, 0x1000
	s_addc_u32 s9, s37, 0
	s_mov_b64 s[4:5], s[38:39]
	s_mov_b64 s[10:11], s[34:35]
	s_mov_b32 s12, s41
	s_mov_b32 s13, s40
	;; [unrolled: 1-line block ×3, first 2 shown]
	s_getpc_b64 s[0:1]
	s_add_u32 s0, s0, _Z47ncclDevFunc_ReduceScatter_RING_LL_Sum_f32_0_0_1v@rel32@lo+4
	s_addc_u32 s1, s1, _Z47ncclDevFunc_ReduceScatter_RING_LL_Sum_f32_0_0_1v@rel32@hi+12
	s_delay_alu instid0(SALU_CYCLE_1)
	s_swappc_b64 s[30:31], s[0:1]
.LBB0_391:                              ;   in Loop: Header=BB0_92 Depth=1
	s_mov_b32 s0, 0
.LBB0_392:                              ;   in Loop: Header=BB0_92 Depth=1
	s_delay_alu instid0(SALU_CYCLE_1)
	s_and_not1_b32 vcc_lo, exec_lo, s0
	s_cbranch_vccnz .LBB0_422
; %bb.393:                              ;   in Loop: Header=BB0_92 Depth=1
	s_cmp_gt_u32 s48, 48
	s_mov_b32 s0, -1
	s_cbranch_scc0 .LBB0_410
; %bb.394:                              ;   in Loop: Header=BB0_92 Depth=1
	s_cmp_gt_u32 s48, 51
	s_cbranch_scc0 .LBB0_404
; %bb.395:                              ;   in Loop: Header=BB0_92 Depth=1
	v_cmp_lt_i16_e64 s0, s48, 53
	s_delay_alu instid0(VALU_DEP_1)
	s_and_b32 vcc_lo, exec_lo, s0
	s_mov_b32 s0, -1
	s_cbranch_vccnz .LBB0_401
; %bb.396:                              ;   in Loop: Header=BB0_92 Depth=1
	v_cmp_ne_u16_e64 s0, s48, 53
	s_delay_alu instid0(VALU_DEP_1)
	s_and_b32 vcc_lo, exec_lo, s0
	s_mov_b32 s0, -1
	s_cbranch_vccz .LBB0_398
; %bb.397:                              ;   in Loop: Header=BB0_92 Depth=1
	v_mov_b32_e32 v31, v40
	s_add_u32 s8, s36, 0x1000
	s_addc_u32 s9, s37, 0
	s_mov_b64 s[4:5], s[38:39]
	s_mov_b64 s[10:11], s[34:35]
	s_mov_b32 s12, s41
	s_mov_b32 s13, s40
	;; [unrolled: 1-line block ×3, first 2 shown]
	s_getpc_b64 s[0:1]
	s_add_u32 s0, s0, _Z47ncclDevFunc_ReduceScatter_RING_LL_Sum_u64_0_0_1v@rel32@lo+4
	s_addc_u32 s1, s1, _Z47ncclDevFunc_ReduceScatter_RING_LL_Sum_u64_0_0_1v@rel32@hi+12
	s_delay_alu instid0(SALU_CYCLE_1)
	s_swappc_b64 s[30:31], s[0:1]
	s_mov_b32 s0, 0
.LBB0_398:                              ;   in Loop: Header=BB0_92 Depth=1
	s_delay_alu instid0(SALU_CYCLE_1)
	s_and_not1_b32 vcc_lo, exec_lo, s0
	s_cbranch_vccnz .LBB0_400
; %bb.399:                              ;   in Loop: Header=BB0_92 Depth=1
	v_mov_b32_e32 v31, v40
	s_add_u32 s8, s36, 0x1000
	s_addc_u32 s9, s37, 0
	s_mov_b64 s[4:5], s[38:39]
	s_mov_b64 s[10:11], s[34:35]
	s_mov_b32 s12, s41
	s_mov_b32 s13, s40
	s_mov_b32 s14, s33
	s_getpc_b64 s[0:1]
	s_add_u32 s0, s0, _Z47ncclDevFunc_ReduceScatter_RING_LL_Sum_u32_0_0_1v@rel32@lo+4
	s_addc_u32 s1, s1, _Z47ncclDevFunc_ReduceScatter_RING_LL_Sum_u32_0_0_1v@rel32@hi+12
	s_delay_alu instid0(SALU_CYCLE_1)
	s_swappc_b64 s[30:31], s[0:1]
.LBB0_400:                              ;   in Loop: Header=BB0_92 Depth=1
	s_mov_b32 s0, 0
.LBB0_401:                              ;   in Loop: Header=BB0_92 Depth=1
	s_delay_alu instid0(SALU_CYCLE_1)
	s_and_not1_b32 vcc_lo, exec_lo, s0
	s_cbranch_vccnz .LBB0_403
; %bb.402:                              ;   in Loop: Header=BB0_92 Depth=1
	v_mov_b32_e32 v31, v40
	s_add_u32 s8, s36, 0x1000
	s_addc_u32 s9, s37, 0
	s_mov_b64 s[4:5], s[38:39]
	s_mov_b64 s[10:11], s[34:35]
	s_mov_b32 s12, s41
	s_mov_b32 s13, s40
	;; [unrolled: 1-line block ×3, first 2 shown]
	s_getpc_b64 s[0:1]
	s_add_u32 s0, s0, _Z46ncclDevFunc_ReduceScatter_RING_LL_Sum_u8_0_0_1v@rel32@lo+4
	s_addc_u32 s1, s1, _Z46ncclDevFunc_ReduceScatter_RING_LL_Sum_u8_0_0_1v@rel32@hi+12
	s_delay_alu instid0(SALU_CYCLE_1)
	s_swappc_b64 s[30:31], s[0:1]
.LBB0_403:                              ;   in Loop: Header=BB0_92 Depth=1
	s_mov_b32 s0, 0
.LBB0_404:                              ;   in Loop: Header=BB0_92 Depth=1
	s_delay_alu instid0(SALU_CYCLE_1)
	s_and_b32 vcc_lo, exec_lo, s0
	s_cbranch_vccz .LBB0_409
; %bb.405:                              ;   in Loop: Header=BB0_92 Depth=1
	s_cmp_lg_u32 s48, 49
	s_mov_b32 s0, -1
	s_cbranch_scc0 .LBB0_407
; %bb.406:                              ;   in Loop: Header=BB0_92 Depth=1
	v_mov_b32_e32 v31, v40
	s_add_u32 s8, s36, 0x1000
	s_addc_u32 s9, s37, 0
	s_mov_b64 s[4:5], s[38:39]
	s_mov_b64 s[10:11], s[34:35]
	s_mov_b32 s12, s41
	s_mov_b32 s13, s40
	;; [unrolled: 1-line block ×3, first 2 shown]
	s_getpc_b64 s[0:1]
	s_add_u32 s0, s0, _Z45ncclDevFunc_AllGather_PAT_SIMPLE_Sum_i8_0_0_1v@rel32@lo+4
	s_addc_u32 s1, s1, _Z45ncclDevFunc_AllGather_PAT_SIMPLE_Sum_i8_0_0_1v@rel32@hi+12
	s_delay_alu instid0(SALU_CYCLE_1)
	s_swappc_b64 s[30:31], s[0:1]
	s_mov_b32 s0, 0
.LBB0_407:                              ;   in Loop: Header=BB0_92 Depth=1
	s_delay_alu instid0(SALU_CYCLE_1)
	s_and_not1_b32 vcc_lo, exec_lo, s0
	s_cbranch_vccnz .LBB0_409
; %bb.408:                              ;   in Loop: Header=BB0_92 Depth=1
	v_mov_b32_e32 v31, v40
	s_add_u32 s8, s36, 0x1000
	s_addc_u32 s9, s37, 0
	s_mov_b64 s[4:5], s[38:39]
	s_mov_b64 s[10:11], s[34:35]
	s_mov_b32 s12, s41
	s_mov_b32 s13, s40
	s_mov_b32 s14, s33
	s_getpc_b64 s[0:1]
	s_add_u32 s0, s0, _Z41ncclDevFunc_AllGather_PAT_LL_Sum_i8_0_0_1v@rel32@lo+4
	s_addc_u32 s1, s1, _Z41ncclDevFunc_AllGather_PAT_LL_Sum_i8_0_0_1v@rel32@hi+12
	s_delay_alu instid0(SALU_CYCLE_1)
	s_swappc_b64 s[30:31], s[0:1]
.LBB0_409:                              ;   in Loop: Header=BB0_92 Depth=1
	s_mov_b32 s0, 0
.LBB0_410:                              ;   in Loop: Header=BB0_92 Depth=1
	s_delay_alu instid0(SALU_CYCLE_1)
	s_and_not1_b32 vcc_lo, exec_lo, s0
	s_cbranch_vccnz .LBB0_422
; %bb.411:                              ;   in Loop: Header=BB0_92 Depth=1
	s_cmp_gt_u32 s48, 45
	s_mov_b32 s0, -1
	s_cbranch_scc0 .LBB0_417
; %bb.412:                              ;   in Loop: Header=BB0_92 Depth=1
	s_cmp_lg_u32 s48, 46
	s_cbranch_scc0 .LBB0_414
; %bb.413:                              ;   in Loop: Header=BB0_92 Depth=1
	v_mov_b32_e32 v31, v40
	s_add_u32 s8, s36, 0x1000
	s_addc_u32 s9, s37, 0
	s_mov_b64 s[4:5], s[38:39]
	s_mov_b64 s[10:11], s[34:35]
	s_mov_b32 s12, s41
	s_mov_b32 s13, s40
	;; [unrolled: 1-line block ×3, first 2 shown]
	s_getpc_b64 s[0:1]
	s_add_u32 s0, s0, _Z46ncclDevFunc_AllGather_RING_SIMPLE_Sum_i8_0_0_1v@rel32@lo+4
	s_addc_u32 s1, s1, _Z46ncclDevFunc_AllGather_RING_SIMPLE_Sum_i8_0_0_1v@rel32@hi+12
	s_delay_alu instid0(SALU_CYCLE_1)
	s_swappc_b64 s[30:31], s[0:1]
	s_mov_b32 s0, 0
.LBB0_414:                              ;   in Loop: Header=BB0_92 Depth=1
	s_delay_alu instid0(SALU_CYCLE_1)
	s_and_not1_b32 vcc_lo, exec_lo, s0
	s_cbranch_vccnz .LBB0_416
; %bb.415:                              ;   in Loop: Header=BB0_92 Depth=1
	v_mov_b32_e32 v31, v40
	s_add_u32 s8, s36, 0x1000
	s_addc_u32 s9, s37, 0
	s_mov_b64 s[4:5], s[38:39]
	s_mov_b64 s[10:11], s[34:35]
	s_mov_b32 s12, s41
	s_mov_b32 s13, s40
	;; [unrolled: 1-line block ×3, first 2 shown]
	s_getpc_b64 s[0:1]
	s_add_u32 s0, s0, _Z42ncclDevFunc_AllGather_RING_LL_Sum_i8_0_0_1v@rel32@lo+4
	s_addc_u32 s1, s1, _Z42ncclDevFunc_AllGather_RING_LL_Sum_i8_0_0_1v@rel32@hi+12
	s_delay_alu instid0(SALU_CYCLE_1)
	s_swappc_b64 s[30:31], s[0:1]
.LBB0_416:                              ;   in Loop: Header=BB0_92 Depth=1
	s_mov_b32 s0, 0
.LBB0_417:                              ;   in Loop: Header=BB0_92 Depth=1
	s_delay_alu instid0(SALU_CYCLE_1)
	s_and_not1_b32 vcc_lo, exec_lo, s0
	s_cbranch_vccnz .LBB0_422
; %bb.418:                              ;   in Loop: Header=BB0_92 Depth=1
	s_cmp_eq_u32 s48, 45
	s_mov_b32 s0, -1
	s_cbranch_scc1 .LBB0_420
; %bb.419:                              ;   in Loop: Header=BB0_92 Depth=1
	v_mov_b32_e32 v31, v40
	s_add_u32 s8, s36, 0x1000
	s_addc_u32 s9, s37, 0
	s_mov_b64 s[4:5], s[38:39]
	s_mov_b64 s[10:11], s[34:35]
	s_mov_b32 s12, s41
	s_mov_b32 s13, s40
	;; [unrolled: 1-line block ×3, first 2 shown]
	s_getpc_b64 s[0:1]
	s_add_u32 s0, s0, _Z51ncclDevFunc_Reduce_RING_SIMPLE_SumPostDiv_u32_0_0_1v@rel32@lo+4
	s_addc_u32 s1, s1, _Z51ncclDevFunc_Reduce_RING_SIMPLE_SumPostDiv_u32_0_0_1v@rel32@hi+12
	s_delay_alu instid0(SALU_CYCLE_1)
	s_swappc_b64 s[30:31], s[0:1]
	s_mov_b32 s0, 0
.LBB0_420:                              ;   in Loop: Header=BB0_92 Depth=1
	s_delay_alu instid0(SALU_CYCLE_1)
	s_and_not1_b32 vcc_lo, exec_lo, s0
	s_cbranch_vccnz .LBB0_422
; %bb.421:                              ;   in Loop: Header=BB0_92 Depth=1
	v_mov_b32_e32 v31, v40
	s_add_u32 s8, s36, 0x1000
	s_addc_u32 s9, s37, 0
	s_mov_b64 s[4:5], s[38:39]
	s_mov_b64 s[10:11], s[34:35]
	s_mov_b32 s12, s41
	s_mov_b32 s13, s40
	;; [unrolled: 1-line block ×3, first 2 shown]
	s_getpc_b64 s[0:1]
	s_add_u32 s0, s0, _Z51ncclDevFunc_Reduce_RING_SIMPLE_SumPostDiv_u64_0_0_1v@rel32@lo+4
	s_addc_u32 s1, s1, _Z51ncclDevFunc_Reduce_RING_SIMPLE_SumPostDiv_u64_0_0_1v@rel32@hi+12
	s_delay_alu instid0(SALU_CYCLE_1)
	s_swappc_b64 s[30:31], s[0:1]
.LBB0_422:                              ;   in Loop: Header=BB0_92 Depth=1
	s_mov_b32 s0, 0
.LBB0_423:                              ;   in Loop: Header=BB0_92 Depth=1
	s_delay_alu instid0(SALU_CYCLE_1)
	s_and_not1_b32 vcc_lo, exec_lo, s0
	s_cbranch_vccnz .LBB0_578
; %bb.424:                              ;   in Loop: Header=BB0_92 Depth=1
	s_cmp_gt_u32 s48, 21
	s_mov_b32 s0, -1
	s_cbranch_scc0 .LBB0_503
; %bb.425:                              ;   in Loop: Header=BB0_92 Depth=1
	s_cmp_gt_u32 s48, 32
	s_cbranch_scc0 .LBB0_464
; %bb.426:                              ;   in Loop: Header=BB0_92 Depth=1
	s_cmp_gt_u32 s48, 37
	;; [unrolled: 3-line block ×3, first 2 shown]
	s_cbranch_scc0 .LBB0_437
; %bb.428:                              ;   in Loop: Header=BB0_92 Depth=1
	v_cmp_lt_i16_e64 s0, s48, 42
	s_delay_alu instid0(VALU_DEP_1)
	s_and_b32 vcc_lo, exec_lo, s0
	s_mov_b32 s0, -1
	s_cbranch_vccnz .LBB0_434
; %bb.429:                              ;   in Loop: Header=BB0_92 Depth=1
	v_cmp_ne_u16_e64 s0, s48, 42
	s_delay_alu instid0(VALU_DEP_1)
	s_and_b32 vcc_lo, exec_lo, s0
	s_mov_b32 s0, -1
	s_cbranch_vccz .LBB0_431
; %bb.430:                              ;   in Loop: Header=BB0_92 Depth=1
	v_mov_b32_e32 v31, v40
	s_add_u32 s8, s36, 0x1000
	s_addc_u32 s9, s37, 0
	s_mov_b64 s[4:5], s[38:39]
	s_mov_b64 s[10:11], s[34:35]
	s_mov_b32 s12, s41
	s_mov_b32 s13, s40
	;; [unrolled: 1-line block ×3, first 2 shown]
	s_getpc_b64 s[0:1]
	s_add_u32 s0, s0, _Z50ncclDevFunc_Reduce_RING_SIMPLE_SumPostDiv_u8_0_0_1v@rel32@lo+4
	s_addc_u32 s1, s1, _Z50ncclDevFunc_Reduce_RING_SIMPLE_SumPostDiv_u8_0_0_1v@rel32@hi+12
	s_delay_alu instid0(SALU_CYCLE_1)
	s_swappc_b64 s[30:31], s[0:1]
	s_mov_b32 s0, 0
.LBB0_431:                              ;   in Loop: Header=BB0_92 Depth=1
	s_delay_alu instid0(SALU_CYCLE_1)
	s_and_not1_b32 vcc_lo, exec_lo, s0
	s_cbranch_vccnz .LBB0_433
; %bb.432:                              ;   in Loop: Header=BB0_92 Depth=1
	v_mov_b32_e32 v31, v40
	s_add_u32 s8, s36, 0x1000
	s_addc_u32 s9, s37, 0
	s_mov_b64 s[4:5], s[38:39]
	s_mov_b64 s[10:11], s[34:35]
	s_mov_b32 s12, s41
	s_mov_b32 s13, s40
	;; [unrolled: 1-line block ×3, first 2 shown]
	s_getpc_b64 s[0:1]
	s_add_u32 s0, s0, _Z53ncclDevFunc_Reduce_RING_SIMPLE_PreMulSum_f8e5m2_0_0_1v@rel32@lo+4
	s_addc_u32 s1, s1, _Z53ncclDevFunc_Reduce_RING_SIMPLE_PreMulSum_f8e5m2_0_0_1v@rel32@hi+12
	s_delay_alu instid0(SALU_CYCLE_1)
	s_swappc_b64 s[30:31], s[0:1]
.LBB0_433:                              ;   in Loop: Header=BB0_92 Depth=1
	s_mov_b32 s0, 0
.LBB0_434:                              ;   in Loop: Header=BB0_92 Depth=1
	s_delay_alu instid0(SALU_CYCLE_1)
	s_and_not1_b32 vcc_lo, exec_lo, s0
	s_cbranch_vccnz .LBB0_436
; %bb.435:                              ;   in Loop: Header=BB0_92 Depth=1
	v_mov_b32_e32 v31, v40
	s_add_u32 s8, s36, 0x1000
	s_addc_u32 s9, s37, 0
	s_mov_b64 s[4:5], s[38:39]
	s_mov_b64 s[10:11], s[34:35]
	s_mov_b32 s12, s41
	s_mov_b32 s13, s40
	;; [unrolled: 1-line block ×3, first 2 shown]
	s_getpc_b64 s[0:1]
	s_add_u32 s0, s0, _Z53ncclDevFunc_Reduce_RING_SIMPLE_PreMulSum_f8e4m3_0_0_1v@rel32@lo+4
	s_addc_u32 s1, s1, _Z53ncclDevFunc_Reduce_RING_SIMPLE_PreMulSum_f8e4m3_0_0_1v@rel32@hi+12
	s_delay_alu instid0(SALU_CYCLE_1)
	s_swappc_b64 s[30:31], s[0:1]
.LBB0_436:                              ;   in Loop: Header=BB0_92 Depth=1
	s_mov_b32 s0, 0
.LBB0_437:                              ;   in Loop: Header=BB0_92 Depth=1
	s_delay_alu instid0(SALU_CYCLE_1)
	s_and_b32 vcc_lo, exec_lo, s0
	s_cbranch_vccz .LBB0_446
; %bb.438:                              ;   in Loop: Header=BB0_92 Depth=1
	v_cmp_lt_i16_e64 s0, s48, 39
	s_delay_alu instid0(VALU_DEP_1)
	s_and_b32 vcc_lo, exec_lo, s0
	s_mov_b32 s0, -1
	s_cbranch_vccnz .LBB0_444
; %bb.439:                              ;   in Loop: Header=BB0_92 Depth=1
	v_cmp_ne_u16_e64 s0, s48, 39
	s_delay_alu instid0(VALU_DEP_1)
	s_and_b32 vcc_lo, exec_lo, s0
	s_mov_b32 s0, -1
	s_cbranch_vccz .LBB0_441
; %bb.440:                              ;   in Loop: Header=BB0_92 Depth=1
	v_mov_b32_e32 v31, v40
	s_add_u32 s8, s36, 0x1000
	s_addc_u32 s9, s37, 0
	s_mov_b64 s[4:5], s[38:39]
	s_mov_b64 s[10:11], s[34:35]
	s_mov_b32 s12, s41
	s_mov_b32 s13, s40
	;; [unrolled: 1-line block ×3, first 2 shown]
	s_getpc_b64 s[0:1]
	s_add_u32 s0, s0, _Z51ncclDevFunc_Reduce_RING_SIMPLE_PreMulSum_bf16_0_1_1v@rel32@lo+4
	s_addc_u32 s1, s1, _Z51ncclDevFunc_Reduce_RING_SIMPLE_PreMulSum_bf16_0_1_1v@rel32@hi+12
	s_delay_alu instid0(SALU_CYCLE_1)
	s_swappc_b64 s[30:31], s[0:1]
	s_mov_b32 s0, 0
.LBB0_441:                              ;   in Loop: Header=BB0_92 Depth=1
	s_delay_alu instid0(SALU_CYCLE_1)
	s_and_not1_b32 vcc_lo, exec_lo, s0
	s_cbranch_vccnz .LBB0_443
; %bb.442:                              ;   in Loop: Header=BB0_92 Depth=1
	v_mov_b32_e32 v31, v40
	s_add_u32 s8, s36, 0x1000
	s_addc_u32 s9, s37, 0
	s_mov_b64 s[4:5], s[38:39]
	s_mov_b64 s[10:11], s[34:35]
	s_mov_b32 s12, s41
	s_mov_b32 s13, s40
	;; [unrolled: 1-line block ×3, first 2 shown]
	s_getpc_b64 s[0:1]
	s_add_u32 s0, s0, _Z51ncclDevFunc_Reduce_RING_SIMPLE_PreMulSum_bf16_0_0_1v@rel32@lo+4
	s_addc_u32 s1, s1, _Z51ncclDevFunc_Reduce_RING_SIMPLE_PreMulSum_bf16_0_0_1v@rel32@hi+12
	s_delay_alu instid0(SALU_CYCLE_1)
	s_swappc_b64 s[30:31], s[0:1]
.LBB0_443:                              ;   in Loop: Header=BB0_92 Depth=1
	s_mov_b32 s0, 0
.LBB0_444:                              ;   in Loop: Header=BB0_92 Depth=1
	s_delay_alu instid0(SALU_CYCLE_1)
	s_and_not1_b32 vcc_lo, exec_lo, s0
	s_cbranch_vccnz .LBB0_446
; %bb.445:                              ;   in Loop: Header=BB0_92 Depth=1
	v_mov_b32_e32 v31, v40
	s_add_u32 s8, s36, 0x1000
	s_addc_u32 s9, s37, 0
	s_mov_b64 s[4:5], s[38:39]
	s_mov_b64 s[10:11], s[34:35]
	s_mov_b32 s12, s41
	s_mov_b32 s13, s40
	;; [unrolled: 1-line block ×3, first 2 shown]
	s_getpc_b64 s[0:1]
	s_add_u32 s0, s0, _Z50ncclDevFunc_Reduce_RING_SIMPLE_PreMulSum_f64_0_0_1v@rel32@lo+4
	s_addc_u32 s1, s1, _Z50ncclDevFunc_Reduce_RING_SIMPLE_PreMulSum_f64_0_0_1v@rel32@hi+12
	s_delay_alu instid0(SALU_CYCLE_1)
	s_swappc_b64 s[30:31], s[0:1]
.LBB0_446:                              ;   in Loop: Header=BB0_92 Depth=1
	s_mov_b32 s0, 0
.LBB0_447:                              ;   in Loop: Header=BB0_92 Depth=1
	s_delay_alu instid0(SALU_CYCLE_1)
	s_and_not1_b32 vcc_lo, exec_lo, s0
	s_cbranch_vccnz .LBB0_463
; %bb.448:                              ;   in Loop: Header=BB0_92 Depth=1
	s_cmp_gt_u32 s48, 34
	s_mov_b32 s0, -1
	s_cbranch_scc0 .LBB0_458
; %bb.449:                              ;   in Loop: Header=BB0_92 Depth=1
	v_cmp_lt_i16_e64 s0, s48, 36
	s_delay_alu instid0(VALU_DEP_1)
	s_and_b32 vcc_lo, exec_lo, s0
	s_mov_b32 s0, -1
	s_cbranch_vccnz .LBB0_455
; %bb.450:                              ;   in Loop: Header=BB0_92 Depth=1
	v_cmp_ne_u16_e64 s0, s48, 36
	s_delay_alu instid0(VALU_DEP_1)
	s_and_b32 vcc_lo, exec_lo, s0
	s_mov_b32 s0, -1
	s_cbranch_vccz .LBB0_452
; %bb.451:                              ;   in Loop: Header=BB0_92 Depth=1
	v_mov_b32_e32 v31, v40
	s_add_u32 s8, s36, 0x1000
	s_addc_u32 s9, s37, 0
	s_mov_b64 s[4:5], s[38:39]
	s_mov_b64 s[10:11], s[34:35]
	s_mov_b32 s12, s41
	s_mov_b32 s13, s40
	;; [unrolled: 1-line block ×3, first 2 shown]
	s_getpc_b64 s[0:1]
	s_add_u32 s0, s0, _Z50ncclDevFunc_Reduce_RING_SIMPLE_PreMulSum_f32_0_0_1v@rel32@lo+4
	s_addc_u32 s1, s1, _Z50ncclDevFunc_Reduce_RING_SIMPLE_PreMulSum_f32_0_0_1v@rel32@hi+12
	s_delay_alu instid0(SALU_CYCLE_1)
	s_swappc_b64 s[30:31], s[0:1]
	s_mov_b32 s0, 0
.LBB0_452:                              ;   in Loop: Header=BB0_92 Depth=1
	s_delay_alu instid0(SALU_CYCLE_1)
	s_and_not1_b32 vcc_lo, exec_lo, s0
	s_cbranch_vccnz .LBB0_454
; %bb.453:                              ;   in Loop: Header=BB0_92 Depth=1
	v_mov_b32_e32 v31, v40
	s_add_u32 s8, s36, 0x1000
	s_addc_u32 s9, s37, 0
	s_mov_b64 s[4:5], s[38:39]
	s_mov_b64 s[10:11], s[34:35]
	s_mov_b32 s12, s41
	s_mov_b32 s13, s40
	;; [unrolled: 1-line block ×3, first 2 shown]
	s_getpc_b64 s[0:1]
	s_add_u32 s0, s0, _Z50ncclDevFunc_Reduce_RING_SIMPLE_PreMulSum_f16_0_0_1v@rel32@lo+4
	s_addc_u32 s1, s1, _Z50ncclDevFunc_Reduce_RING_SIMPLE_PreMulSum_f16_0_0_1v@rel32@hi+12
	s_delay_alu instid0(SALU_CYCLE_1)
	s_swappc_b64 s[30:31], s[0:1]
.LBB0_454:                              ;   in Loop: Header=BB0_92 Depth=1
	s_mov_b32 s0, 0
.LBB0_455:                              ;   in Loop: Header=BB0_92 Depth=1
	s_delay_alu instid0(SALU_CYCLE_1)
	s_and_not1_b32 vcc_lo, exec_lo, s0
	s_cbranch_vccnz .LBB0_457
; %bb.456:                              ;   in Loop: Header=BB0_92 Depth=1
	v_mov_b32_e32 v31, v40
	s_add_u32 s8, s36, 0x1000
	s_addc_u32 s9, s37, 0
	s_mov_b64 s[4:5], s[38:39]
	s_mov_b64 s[10:11], s[34:35]
	s_mov_b32 s12, s41
	s_mov_b32 s13, s40
	;; [unrolled: 1-line block ×3, first 2 shown]
	s_getpc_b64 s[0:1]
	s_add_u32 s0, s0, _Z50ncclDevFunc_Reduce_RING_SIMPLE_PreMulSum_u64_0_0_1v@rel32@lo+4
	s_addc_u32 s1, s1, _Z50ncclDevFunc_Reduce_RING_SIMPLE_PreMulSum_u64_0_0_1v@rel32@hi+12
	s_delay_alu instid0(SALU_CYCLE_1)
	s_swappc_b64 s[30:31], s[0:1]
.LBB0_457:                              ;   in Loop: Header=BB0_92 Depth=1
	s_mov_b32 s0, 0
.LBB0_458:                              ;   in Loop: Header=BB0_92 Depth=1
	s_delay_alu instid0(SALU_CYCLE_1)
	s_and_b32 vcc_lo, exec_lo, s0
	s_cbranch_vccz .LBB0_463
; %bb.459:                              ;   in Loop: Header=BB0_92 Depth=1
	s_cmp_eq_u32 s48, 34
	s_mov_b32 s0, -1
	s_cbranch_scc1 .LBB0_461
; %bb.460:                              ;   in Loop: Header=BB0_92 Depth=1
	v_mov_b32_e32 v31, v40
	s_add_u32 s8, s36, 0x1000
	s_addc_u32 s9, s37, 0
	s_mov_b64 s[4:5], s[38:39]
	s_mov_b64 s[10:11], s[34:35]
	s_mov_b32 s12, s41
	s_mov_b32 s13, s40
	;; [unrolled: 1-line block ×3, first 2 shown]
	s_getpc_b64 s[0:1]
	s_add_u32 s0, s0, _Z49ncclDevFunc_Reduce_RING_SIMPLE_PreMulSum_u8_0_0_1v@rel32@lo+4
	s_addc_u32 s1, s1, _Z49ncclDevFunc_Reduce_RING_SIMPLE_PreMulSum_u8_0_0_1v@rel32@hi+12
	s_delay_alu instid0(SALU_CYCLE_1)
	s_swappc_b64 s[30:31], s[0:1]
	s_mov_b32 s0, 0
.LBB0_461:                              ;   in Loop: Header=BB0_92 Depth=1
	s_delay_alu instid0(SALU_CYCLE_1)
	s_and_not1_b32 vcc_lo, exec_lo, s0
	s_cbranch_vccnz .LBB0_463
; %bb.462:                              ;   in Loop: Header=BB0_92 Depth=1
	v_mov_b32_e32 v31, v40
	s_add_u32 s8, s36, 0x1000
	s_addc_u32 s9, s37, 0
	s_mov_b64 s[4:5], s[38:39]
	s_mov_b64 s[10:11], s[34:35]
	s_mov_b32 s12, s41
	s_mov_b32 s13, s40
	;; [unrolled: 1-line block ×3, first 2 shown]
	s_getpc_b64 s[0:1]
	s_add_u32 s0, s0, _Z50ncclDevFunc_Reduce_RING_SIMPLE_PreMulSum_u32_0_0_1v@rel32@lo+4
	s_addc_u32 s1, s1, _Z50ncclDevFunc_Reduce_RING_SIMPLE_PreMulSum_u32_0_0_1v@rel32@hi+12
	s_delay_alu instid0(SALU_CYCLE_1)
	s_swappc_b64 s[30:31], s[0:1]
.LBB0_463:                              ;   in Loop: Header=BB0_92 Depth=1
	s_mov_b32 s0, 0
.LBB0_464:                              ;   in Loop: Header=BB0_92 Depth=1
	s_delay_alu instid0(SALU_CYCLE_1)
	s_and_not1_b32 vcc_lo, exec_lo, s0
	s_cbranch_vccnz .LBB0_502
; %bb.465:                              ;   in Loop: Header=BB0_92 Depth=1
	s_cmp_gt_u32 s48, 26
	s_mov_b32 s0, -1
	s_cbranch_scc0 .LBB0_486
; %bb.466:                              ;   in Loop: Header=BB0_92 Depth=1
	s_cmp_gt_u32 s48, 29
	s_cbranch_scc0 .LBB0_476
; %bb.467:                              ;   in Loop: Header=BB0_92 Depth=1
	v_cmp_lt_i16_e64 s0, s48, 31
	s_delay_alu instid0(VALU_DEP_1)
	s_and_b32 vcc_lo, exec_lo, s0
	s_mov_b32 s0, -1
	s_cbranch_vccnz .LBB0_473
; %bb.468:                              ;   in Loop: Header=BB0_92 Depth=1
	v_cmp_ne_u16_e64 s0, s48, 31
	s_delay_alu instid0(VALU_DEP_1)
	s_and_b32 vcc_lo, exec_lo, s0
	s_mov_b32 s0, -1
	s_cbranch_vccz .LBB0_470
; %bb.469:                              ;   in Loop: Header=BB0_92 Depth=1
	v_mov_b32_e32 v31, v40
	s_add_u32 s8, s36, 0x1000
	s_addc_u32 s9, s37, 0
	s_mov_b64 s[4:5], s[38:39]
	s_mov_b64 s[10:11], s[34:35]
	s_mov_b32 s12, s41
	s_mov_b32 s13, s40
	;; [unrolled: 1-line block ×3, first 2 shown]
	s_getpc_b64 s[0:1]
	s_add_u32 s0, s0, _Z50ncclDevFunc_Reduce_RING_SIMPLE_MinMax_f8e5m2_0_0_1v@rel32@lo+4
	s_addc_u32 s1, s1, _Z50ncclDevFunc_Reduce_RING_SIMPLE_MinMax_f8e5m2_0_0_1v@rel32@hi+12
	s_delay_alu instid0(SALU_CYCLE_1)
	s_swappc_b64 s[30:31], s[0:1]
	s_mov_b32 s0, 0
.LBB0_470:                              ;   in Loop: Header=BB0_92 Depth=1
	s_delay_alu instid0(SALU_CYCLE_1)
	s_and_not1_b32 vcc_lo, exec_lo, s0
	s_cbranch_vccnz .LBB0_472
; %bb.471:                              ;   in Loop: Header=BB0_92 Depth=1
	v_mov_b32_e32 v31, v40
	s_add_u32 s8, s36, 0x1000
	s_addc_u32 s9, s37, 0
	s_mov_b64 s[4:5], s[38:39]
	s_mov_b64 s[10:11], s[34:35]
	s_mov_b32 s12, s41
	s_mov_b32 s13, s40
	;; [unrolled: 1-line block ×3, first 2 shown]
	s_getpc_b64 s[0:1]
	s_add_u32 s0, s0, _Z50ncclDevFunc_Reduce_RING_SIMPLE_MinMax_f8e4m3_0_0_1v@rel32@lo+4
	s_addc_u32 s1, s1, _Z50ncclDevFunc_Reduce_RING_SIMPLE_MinMax_f8e4m3_0_0_1v@rel32@hi+12
	s_delay_alu instid0(SALU_CYCLE_1)
	s_swappc_b64 s[30:31], s[0:1]
.LBB0_472:                              ;   in Loop: Header=BB0_92 Depth=1
	s_mov_b32 s0, 0
.LBB0_473:                              ;   in Loop: Header=BB0_92 Depth=1
	s_delay_alu instid0(SALU_CYCLE_1)
	s_and_not1_b32 vcc_lo, exec_lo, s0
	s_cbranch_vccnz .LBB0_475
; %bb.474:                              ;   in Loop: Header=BB0_92 Depth=1
	v_mov_b32_e32 v31, v40
	s_add_u32 s8, s36, 0x1000
	s_addc_u32 s9, s37, 0
	s_mov_b64 s[4:5], s[38:39]
	s_mov_b64 s[10:11], s[34:35]
	s_mov_b32 s12, s41
	s_mov_b32 s13, s40
	;; [unrolled: 1-line block ×3, first 2 shown]
	s_getpc_b64 s[0:1]
	s_add_u32 s0, s0, _Z48ncclDevFunc_Reduce_RING_SIMPLE_MinMax_bf16_0_1_1v@rel32@lo+4
	s_addc_u32 s1, s1, _Z48ncclDevFunc_Reduce_RING_SIMPLE_MinMax_bf16_0_1_1v@rel32@hi+12
	s_delay_alu instid0(SALU_CYCLE_1)
	s_swappc_b64 s[30:31], s[0:1]
.LBB0_475:                              ;   in Loop: Header=BB0_92 Depth=1
	s_mov_b32 s0, 0
.LBB0_476:                              ;   in Loop: Header=BB0_92 Depth=1
	s_delay_alu instid0(SALU_CYCLE_1)
	s_and_b32 vcc_lo, exec_lo, s0
	s_cbranch_vccz .LBB0_485
; %bb.477:                              ;   in Loop: Header=BB0_92 Depth=1
	v_cmp_lt_i16_e64 s0, s48, 28
	s_delay_alu instid0(VALU_DEP_1)
	s_and_b32 vcc_lo, exec_lo, s0
	s_mov_b32 s0, -1
	s_cbranch_vccnz .LBB0_483
; %bb.478:                              ;   in Loop: Header=BB0_92 Depth=1
	v_cmp_ne_u16_e64 s0, s48, 28
	s_delay_alu instid0(VALU_DEP_1)
	s_and_b32 vcc_lo, exec_lo, s0
	s_mov_b32 s0, -1
	s_cbranch_vccz .LBB0_480
; %bb.479:                              ;   in Loop: Header=BB0_92 Depth=1
	v_mov_b32_e32 v31, v40
	s_add_u32 s8, s36, 0x1000
	s_addc_u32 s9, s37, 0
	s_mov_b64 s[4:5], s[38:39]
	s_mov_b64 s[10:11], s[34:35]
	s_mov_b32 s12, s41
	s_mov_b32 s13, s40
	s_mov_b32 s14, s33
	s_getpc_b64 s[0:1]
	s_add_u32 s0, s0, _Z48ncclDevFunc_Reduce_RING_SIMPLE_MinMax_bf16_0_0_1v@rel32@lo+4
	s_addc_u32 s1, s1, _Z48ncclDevFunc_Reduce_RING_SIMPLE_MinMax_bf16_0_0_1v@rel32@hi+12
	s_delay_alu instid0(SALU_CYCLE_1)
	s_swappc_b64 s[30:31], s[0:1]
	s_mov_b32 s0, 0
.LBB0_480:                              ;   in Loop: Header=BB0_92 Depth=1
	s_delay_alu instid0(SALU_CYCLE_1)
	s_and_not1_b32 vcc_lo, exec_lo, s0
	s_cbranch_vccnz .LBB0_482
; %bb.481:                              ;   in Loop: Header=BB0_92 Depth=1
	v_mov_b32_e32 v31, v40
	s_add_u32 s8, s36, 0x1000
	s_addc_u32 s9, s37, 0
	s_mov_b64 s[4:5], s[38:39]
	s_mov_b64 s[10:11], s[34:35]
	s_mov_b32 s12, s41
	s_mov_b32 s13, s40
	;; [unrolled: 1-line block ×3, first 2 shown]
	s_getpc_b64 s[0:1]
	s_add_u32 s0, s0, _Z47ncclDevFunc_Reduce_RING_SIMPLE_MinMax_f64_0_0_1v@rel32@lo+4
	s_addc_u32 s1, s1, _Z47ncclDevFunc_Reduce_RING_SIMPLE_MinMax_f64_0_0_1v@rel32@hi+12
	s_delay_alu instid0(SALU_CYCLE_1)
	s_swappc_b64 s[30:31], s[0:1]
.LBB0_482:                              ;   in Loop: Header=BB0_92 Depth=1
	s_mov_b32 s0, 0
.LBB0_483:                              ;   in Loop: Header=BB0_92 Depth=1
	s_delay_alu instid0(SALU_CYCLE_1)
	s_and_not1_b32 vcc_lo, exec_lo, s0
	s_cbranch_vccnz .LBB0_485
; %bb.484:                              ;   in Loop: Header=BB0_92 Depth=1
	v_mov_b32_e32 v31, v40
	s_add_u32 s8, s36, 0x1000
	s_addc_u32 s9, s37, 0
	s_mov_b64 s[4:5], s[38:39]
	s_mov_b64 s[10:11], s[34:35]
	s_mov_b32 s12, s41
	s_mov_b32 s13, s40
	;; [unrolled: 1-line block ×3, first 2 shown]
	s_getpc_b64 s[0:1]
	s_add_u32 s0, s0, _Z47ncclDevFunc_Reduce_RING_SIMPLE_MinMax_f32_0_0_1v@rel32@lo+4
	s_addc_u32 s1, s1, _Z47ncclDevFunc_Reduce_RING_SIMPLE_MinMax_f32_0_0_1v@rel32@hi+12
	s_delay_alu instid0(SALU_CYCLE_1)
	s_swappc_b64 s[30:31], s[0:1]
.LBB0_485:                              ;   in Loop: Header=BB0_92 Depth=1
	s_mov_b32 s0, 0
.LBB0_486:                              ;   in Loop: Header=BB0_92 Depth=1
	s_delay_alu instid0(SALU_CYCLE_1)
	s_and_not1_b32 vcc_lo, exec_lo, s0
	s_cbranch_vccnz .LBB0_502
; %bb.487:                              ;   in Loop: Header=BB0_92 Depth=1
	s_cmp_gt_u32 s48, 23
	s_mov_b32 s0, -1
	s_cbranch_scc0 .LBB0_497
; %bb.488:                              ;   in Loop: Header=BB0_92 Depth=1
	v_cmp_lt_i16_e64 s0, s48, 25
	s_delay_alu instid0(VALU_DEP_1)
	s_and_b32 vcc_lo, exec_lo, s0
	s_mov_b32 s0, -1
	s_cbranch_vccnz .LBB0_494
; %bb.489:                              ;   in Loop: Header=BB0_92 Depth=1
	v_cmp_ne_u16_e64 s0, s48, 25
	s_delay_alu instid0(VALU_DEP_1)
	s_and_b32 vcc_lo, exec_lo, s0
	s_mov_b32 s0, -1
	s_cbranch_vccz .LBB0_491
; %bb.490:                              ;   in Loop: Header=BB0_92 Depth=1
	v_mov_b32_e32 v31, v40
	s_add_u32 s8, s36, 0x1000
	s_addc_u32 s9, s37, 0
	s_mov_b64 s[4:5], s[38:39]
	s_mov_b64 s[10:11], s[34:35]
	s_mov_b32 s12, s41
	s_mov_b32 s13, s40
	;; [unrolled: 1-line block ×3, first 2 shown]
	s_getpc_b64 s[0:1]
	s_add_u32 s0, s0, _Z47ncclDevFunc_Reduce_RING_SIMPLE_MinMax_f16_0_0_1v@rel32@lo+4
	s_addc_u32 s1, s1, _Z47ncclDevFunc_Reduce_RING_SIMPLE_MinMax_f16_0_0_1v@rel32@hi+12
	s_delay_alu instid0(SALU_CYCLE_1)
	s_swappc_b64 s[30:31], s[0:1]
	s_mov_b32 s0, 0
.LBB0_491:                              ;   in Loop: Header=BB0_92 Depth=1
	s_delay_alu instid0(SALU_CYCLE_1)
	s_and_not1_b32 vcc_lo, exec_lo, s0
	s_cbranch_vccnz .LBB0_493
; %bb.492:                              ;   in Loop: Header=BB0_92 Depth=1
	v_mov_b32_e32 v31, v40
	s_add_u32 s8, s36, 0x1000
	s_addc_u32 s9, s37, 0
	s_mov_b64 s[4:5], s[38:39]
	s_mov_b64 s[10:11], s[34:35]
	s_mov_b32 s12, s41
	s_mov_b32 s13, s40
	s_mov_b32 s14, s33
	s_getpc_b64 s[0:1]
	s_add_u32 s0, s0, _Z47ncclDevFunc_Reduce_RING_SIMPLE_MinMax_u64_0_0_1v@rel32@lo+4
	s_addc_u32 s1, s1, _Z47ncclDevFunc_Reduce_RING_SIMPLE_MinMax_u64_0_0_1v@rel32@hi+12
	s_delay_alu instid0(SALU_CYCLE_1)
	s_swappc_b64 s[30:31], s[0:1]
.LBB0_493:                              ;   in Loop: Header=BB0_92 Depth=1
	s_mov_b32 s0, 0
.LBB0_494:                              ;   in Loop: Header=BB0_92 Depth=1
	s_delay_alu instid0(SALU_CYCLE_1)
	s_and_not1_b32 vcc_lo, exec_lo, s0
	s_cbranch_vccnz .LBB0_496
; %bb.495:                              ;   in Loop: Header=BB0_92 Depth=1
	v_mov_b32_e32 v31, v40
	s_add_u32 s8, s36, 0x1000
	s_addc_u32 s9, s37, 0
	s_mov_b64 s[4:5], s[38:39]
	s_mov_b64 s[10:11], s[34:35]
	s_mov_b32 s12, s41
	s_mov_b32 s13, s40
	s_mov_b32 s14, s33
	s_getpc_b64 s[0:1]
	s_add_u32 s0, s0, _Z47ncclDevFunc_Reduce_RING_SIMPLE_MinMax_u32_0_0_1v@rel32@lo+4
	s_addc_u32 s1, s1, _Z47ncclDevFunc_Reduce_RING_SIMPLE_MinMax_u32_0_0_1v@rel32@hi+12
	s_delay_alu instid0(SALU_CYCLE_1)
	s_swappc_b64 s[30:31], s[0:1]
.LBB0_496:                              ;   in Loop: Header=BB0_92 Depth=1
	s_mov_b32 s0, 0
.LBB0_497:                              ;   in Loop: Header=BB0_92 Depth=1
	s_delay_alu instid0(SALU_CYCLE_1)
	s_and_b32 vcc_lo, exec_lo, s0
	s_cbranch_vccz .LBB0_502
; %bb.498:                              ;   in Loop: Header=BB0_92 Depth=1
	s_cmp_eq_u32 s48, 23
	s_mov_b32 s0, -1
	s_cbranch_scc1 .LBB0_500
; %bb.499:                              ;   in Loop: Header=BB0_92 Depth=1
	v_mov_b32_e32 v31, v40
	s_add_u32 s8, s36, 0x1000
	s_addc_u32 s9, s37, 0
	s_mov_b64 s[4:5], s[38:39]
	s_mov_b64 s[10:11], s[34:35]
	s_mov_b32 s12, s41
	s_mov_b32 s13, s40
	;; [unrolled: 1-line block ×3, first 2 shown]
	s_getpc_b64 s[0:1]
	s_add_u32 s0, s0, _Z48ncclDevFunc_Reduce_RING_SIMPLE_Prod_f8e5m2_0_0_1v@rel32@lo+4
	s_addc_u32 s1, s1, _Z48ncclDevFunc_Reduce_RING_SIMPLE_Prod_f8e5m2_0_0_1v@rel32@hi+12
	s_delay_alu instid0(SALU_CYCLE_1)
	s_swappc_b64 s[30:31], s[0:1]
	s_mov_b32 s0, 0
.LBB0_500:                              ;   in Loop: Header=BB0_92 Depth=1
	s_delay_alu instid0(SALU_CYCLE_1)
	s_and_not1_b32 vcc_lo, exec_lo, s0
	s_cbranch_vccnz .LBB0_502
; %bb.501:                              ;   in Loop: Header=BB0_92 Depth=1
	v_mov_b32_e32 v31, v40
	s_add_u32 s8, s36, 0x1000
	s_addc_u32 s9, s37, 0
	s_mov_b64 s[4:5], s[38:39]
	s_mov_b64 s[10:11], s[34:35]
	s_mov_b32 s12, s41
	s_mov_b32 s13, s40
	;; [unrolled: 1-line block ×3, first 2 shown]
	s_getpc_b64 s[0:1]
	s_add_u32 s0, s0, _Z46ncclDevFunc_Reduce_RING_SIMPLE_MinMax_u8_0_0_1v@rel32@lo+4
	s_addc_u32 s1, s1, _Z46ncclDevFunc_Reduce_RING_SIMPLE_MinMax_u8_0_0_1v@rel32@hi+12
	s_delay_alu instid0(SALU_CYCLE_1)
	s_swappc_b64 s[30:31], s[0:1]
.LBB0_502:                              ;   in Loop: Header=BB0_92 Depth=1
	s_mov_b32 s0, 0
.LBB0_503:                              ;   in Loop: Header=BB0_92 Depth=1
	s_delay_alu instid0(SALU_CYCLE_1)
	s_and_not1_b32 vcc_lo, exec_lo, s0
	s_cbranch_vccnz .LBB0_578
; %bb.504:                              ;   in Loop: Header=BB0_92 Depth=1
	s_cmp_gt_u32 s48, 10
	s_mov_b32 s0, -1
	s_cbranch_scc0 .LBB0_543
; %bb.505:                              ;   in Loop: Header=BB0_92 Depth=1
	s_cmp_gt_u32 s48, 15
	s_cbranch_scc0 .LBB0_526
; %bb.506:                              ;   in Loop: Header=BB0_92 Depth=1
	s_cmp_gt_u32 s48, 18
	s_cbranch_scc0 .LBB0_516
; %bb.507:                              ;   in Loop: Header=BB0_92 Depth=1
	v_cmp_lt_i16_e64 s0, s48, 20
	s_delay_alu instid0(VALU_DEP_1)
	s_and_b32 vcc_lo, exec_lo, s0
	s_mov_b32 s0, -1
	s_cbranch_vccnz .LBB0_513
; %bb.508:                              ;   in Loop: Header=BB0_92 Depth=1
	v_cmp_ne_u16_e64 s0, s48, 20
	s_delay_alu instid0(VALU_DEP_1)
	s_and_b32 vcc_lo, exec_lo, s0
	s_mov_b32 s0, -1
	s_cbranch_vccz .LBB0_510
; %bb.509:                              ;   in Loop: Header=BB0_92 Depth=1
	v_mov_b32_e32 v31, v40
	s_add_u32 s8, s36, 0x1000
	s_addc_u32 s9, s37, 0
	s_mov_b64 s[4:5], s[38:39]
	s_mov_b64 s[10:11], s[34:35]
	s_mov_b32 s12, s41
	s_mov_b32 s13, s40
	;; [unrolled: 1-line block ×3, first 2 shown]
	s_getpc_b64 s[0:1]
	s_add_u32 s0, s0, _Z48ncclDevFunc_Reduce_RING_SIMPLE_Prod_f8e4m3_0_0_1v@rel32@lo+4
	s_addc_u32 s1, s1, _Z48ncclDevFunc_Reduce_RING_SIMPLE_Prod_f8e4m3_0_0_1v@rel32@hi+12
	s_delay_alu instid0(SALU_CYCLE_1)
	s_swappc_b64 s[30:31], s[0:1]
	s_mov_b32 s0, 0
.LBB0_510:                              ;   in Loop: Header=BB0_92 Depth=1
	s_delay_alu instid0(SALU_CYCLE_1)
	s_and_not1_b32 vcc_lo, exec_lo, s0
	s_cbranch_vccnz .LBB0_512
; %bb.511:                              ;   in Loop: Header=BB0_92 Depth=1
	v_mov_b32_e32 v31, v40
	s_add_u32 s8, s36, 0x1000
	s_addc_u32 s9, s37, 0
	s_mov_b64 s[4:5], s[38:39]
	s_mov_b64 s[10:11], s[34:35]
	s_mov_b32 s12, s41
	s_mov_b32 s13, s40
	;; [unrolled: 1-line block ×3, first 2 shown]
	s_getpc_b64 s[0:1]
	s_add_u32 s0, s0, _Z46ncclDevFunc_Reduce_RING_SIMPLE_Prod_bf16_0_1_1v@rel32@lo+4
	s_addc_u32 s1, s1, _Z46ncclDevFunc_Reduce_RING_SIMPLE_Prod_bf16_0_1_1v@rel32@hi+12
	s_delay_alu instid0(SALU_CYCLE_1)
	s_swappc_b64 s[30:31], s[0:1]
.LBB0_512:                              ;   in Loop: Header=BB0_92 Depth=1
	s_mov_b32 s0, 0
.LBB0_513:                              ;   in Loop: Header=BB0_92 Depth=1
	s_delay_alu instid0(SALU_CYCLE_1)
	s_and_not1_b32 vcc_lo, exec_lo, s0
	s_cbranch_vccnz .LBB0_515
; %bb.514:                              ;   in Loop: Header=BB0_92 Depth=1
	v_mov_b32_e32 v31, v40
	s_add_u32 s8, s36, 0x1000
	s_addc_u32 s9, s37, 0
	s_mov_b64 s[4:5], s[38:39]
	s_mov_b64 s[10:11], s[34:35]
	s_mov_b32 s12, s41
	s_mov_b32 s13, s40
	;; [unrolled: 1-line block ×3, first 2 shown]
	s_getpc_b64 s[0:1]
	s_add_u32 s0, s0, _Z46ncclDevFunc_Reduce_RING_SIMPLE_Prod_bf16_0_0_1v@rel32@lo+4
	s_addc_u32 s1, s1, _Z46ncclDevFunc_Reduce_RING_SIMPLE_Prod_bf16_0_0_1v@rel32@hi+12
	s_delay_alu instid0(SALU_CYCLE_1)
	s_swappc_b64 s[30:31], s[0:1]
.LBB0_515:                              ;   in Loop: Header=BB0_92 Depth=1
	s_mov_b32 s0, 0
.LBB0_516:                              ;   in Loop: Header=BB0_92 Depth=1
	s_delay_alu instid0(SALU_CYCLE_1)
	s_and_b32 vcc_lo, exec_lo, s0
	s_cbranch_vccz .LBB0_525
; %bb.517:                              ;   in Loop: Header=BB0_92 Depth=1
	v_cmp_lt_i16_e64 s0, s48, 17
	s_delay_alu instid0(VALU_DEP_1)
	s_and_b32 vcc_lo, exec_lo, s0
	s_mov_b32 s0, -1
	s_cbranch_vccnz .LBB0_523
; %bb.518:                              ;   in Loop: Header=BB0_92 Depth=1
	v_cmp_ne_u16_e64 s0, s48, 17
	s_delay_alu instid0(VALU_DEP_1)
	s_and_b32 vcc_lo, exec_lo, s0
	s_mov_b32 s0, -1
	s_cbranch_vccz .LBB0_520
; %bb.519:                              ;   in Loop: Header=BB0_92 Depth=1
	v_mov_b32_e32 v31, v40
	s_add_u32 s8, s36, 0x1000
	s_addc_u32 s9, s37, 0
	s_mov_b64 s[4:5], s[38:39]
	s_mov_b64 s[10:11], s[34:35]
	s_mov_b32 s12, s41
	s_mov_b32 s13, s40
	s_mov_b32 s14, s33
	s_getpc_b64 s[0:1]
	s_add_u32 s0, s0, _Z45ncclDevFunc_Reduce_RING_SIMPLE_Prod_f64_0_0_1v@rel32@lo+4
	s_addc_u32 s1, s1, _Z45ncclDevFunc_Reduce_RING_SIMPLE_Prod_f64_0_0_1v@rel32@hi+12
	s_delay_alu instid0(SALU_CYCLE_1)
	s_swappc_b64 s[30:31], s[0:1]
	s_mov_b32 s0, 0
.LBB0_520:                              ;   in Loop: Header=BB0_92 Depth=1
	s_delay_alu instid0(SALU_CYCLE_1)
	s_and_not1_b32 vcc_lo, exec_lo, s0
	s_cbranch_vccnz .LBB0_522
; %bb.521:                              ;   in Loop: Header=BB0_92 Depth=1
	v_mov_b32_e32 v31, v40
	s_add_u32 s8, s36, 0x1000
	s_addc_u32 s9, s37, 0
	s_mov_b64 s[4:5], s[38:39]
	s_mov_b64 s[10:11], s[34:35]
	s_mov_b32 s12, s41
	s_mov_b32 s13, s40
	;; [unrolled: 1-line block ×3, first 2 shown]
	s_getpc_b64 s[0:1]
	s_add_u32 s0, s0, _Z45ncclDevFunc_Reduce_RING_SIMPLE_Prod_f32_0_0_1v@rel32@lo+4
	s_addc_u32 s1, s1, _Z45ncclDevFunc_Reduce_RING_SIMPLE_Prod_f32_0_0_1v@rel32@hi+12
	s_delay_alu instid0(SALU_CYCLE_1)
	s_swappc_b64 s[30:31], s[0:1]
.LBB0_522:                              ;   in Loop: Header=BB0_92 Depth=1
	s_mov_b32 s0, 0
.LBB0_523:                              ;   in Loop: Header=BB0_92 Depth=1
	s_delay_alu instid0(SALU_CYCLE_1)
	s_and_not1_b32 vcc_lo, exec_lo, s0
	s_cbranch_vccnz .LBB0_525
; %bb.524:                              ;   in Loop: Header=BB0_92 Depth=1
	v_mov_b32_e32 v31, v40
	s_add_u32 s8, s36, 0x1000
	s_addc_u32 s9, s37, 0
	s_mov_b64 s[4:5], s[38:39]
	s_mov_b64 s[10:11], s[34:35]
	s_mov_b32 s12, s41
	s_mov_b32 s13, s40
	;; [unrolled: 1-line block ×3, first 2 shown]
	s_getpc_b64 s[0:1]
	s_add_u32 s0, s0, _Z45ncclDevFunc_Reduce_RING_SIMPLE_Prod_f16_0_0_1v@rel32@lo+4
	s_addc_u32 s1, s1, _Z45ncclDevFunc_Reduce_RING_SIMPLE_Prod_f16_0_0_1v@rel32@hi+12
	s_delay_alu instid0(SALU_CYCLE_1)
	s_swappc_b64 s[30:31], s[0:1]
.LBB0_525:                              ;   in Loop: Header=BB0_92 Depth=1
	s_mov_b32 s0, 0
.LBB0_526:                              ;   in Loop: Header=BB0_92 Depth=1
	s_delay_alu instid0(SALU_CYCLE_1)
	s_and_not1_b32 vcc_lo, exec_lo, s0
	s_cbranch_vccnz .LBB0_542
; %bb.527:                              ;   in Loop: Header=BB0_92 Depth=1
	s_cmp_gt_u32 s48, 12
	s_mov_b32 s0, -1
	s_cbranch_scc0 .LBB0_537
; %bb.528:                              ;   in Loop: Header=BB0_92 Depth=1
	v_cmp_lt_i16_e64 s0, s48, 14
	s_delay_alu instid0(VALU_DEP_1)
	s_and_b32 vcc_lo, exec_lo, s0
	s_mov_b32 s0, -1
	s_cbranch_vccnz .LBB0_534
; %bb.529:                              ;   in Loop: Header=BB0_92 Depth=1
	v_cmp_ne_u16_e64 s0, s48, 14
	s_delay_alu instid0(VALU_DEP_1)
	s_and_b32 vcc_lo, exec_lo, s0
	s_mov_b32 s0, -1
	s_cbranch_vccz .LBB0_531
; %bb.530:                              ;   in Loop: Header=BB0_92 Depth=1
	v_mov_b32_e32 v31, v40
	s_add_u32 s8, s36, 0x1000
	s_addc_u32 s9, s37, 0
	s_mov_b64 s[4:5], s[38:39]
	s_mov_b64 s[10:11], s[34:35]
	s_mov_b32 s12, s41
	s_mov_b32 s13, s40
	;; [unrolled: 1-line block ×3, first 2 shown]
	s_getpc_b64 s[0:1]
	s_add_u32 s0, s0, _Z45ncclDevFunc_Reduce_RING_SIMPLE_Prod_u64_0_0_1v@rel32@lo+4
	s_addc_u32 s1, s1, _Z45ncclDevFunc_Reduce_RING_SIMPLE_Prod_u64_0_0_1v@rel32@hi+12
	s_delay_alu instid0(SALU_CYCLE_1)
	s_swappc_b64 s[30:31], s[0:1]
	s_mov_b32 s0, 0
.LBB0_531:                              ;   in Loop: Header=BB0_92 Depth=1
	s_delay_alu instid0(SALU_CYCLE_1)
	s_and_not1_b32 vcc_lo, exec_lo, s0
	s_cbranch_vccnz .LBB0_533
; %bb.532:                              ;   in Loop: Header=BB0_92 Depth=1
	v_mov_b32_e32 v31, v40
	s_add_u32 s8, s36, 0x1000
	s_addc_u32 s9, s37, 0
	s_mov_b64 s[4:5], s[38:39]
	s_mov_b64 s[10:11], s[34:35]
	s_mov_b32 s12, s41
	s_mov_b32 s13, s40
	;; [unrolled: 1-line block ×3, first 2 shown]
	s_getpc_b64 s[0:1]
	s_add_u32 s0, s0, _Z45ncclDevFunc_Reduce_RING_SIMPLE_Prod_u32_0_0_1v@rel32@lo+4
	s_addc_u32 s1, s1, _Z45ncclDevFunc_Reduce_RING_SIMPLE_Prod_u32_0_0_1v@rel32@hi+12
	s_delay_alu instid0(SALU_CYCLE_1)
	s_swappc_b64 s[30:31], s[0:1]
.LBB0_533:                              ;   in Loop: Header=BB0_92 Depth=1
	s_mov_b32 s0, 0
.LBB0_534:                              ;   in Loop: Header=BB0_92 Depth=1
	s_delay_alu instid0(SALU_CYCLE_1)
	s_and_not1_b32 vcc_lo, exec_lo, s0
	s_cbranch_vccnz .LBB0_536
; %bb.535:                              ;   in Loop: Header=BB0_92 Depth=1
	v_mov_b32_e32 v31, v40
	s_add_u32 s8, s36, 0x1000
	s_addc_u32 s9, s37, 0
	s_mov_b64 s[4:5], s[38:39]
	s_mov_b64 s[10:11], s[34:35]
	s_mov_b32 s12, s41
	s_mov_b32 s13, s40
	;; [unrolled: 1-line block ×3, first 2 shown]
	s_getpc_b64 s[0:1]
	s_add_u32 s0, s0, _Z44ncclDevFunc_Reduce_RING_SIMPLE_Prod_u8_0_0_1v@rel32@lo+4
	s_addc_u32 s1, s1, _Z44ncclDevFunc_Reduce_RING_SIMPLE_Prod_u8_0_0_1v@rel32@hi+12
	s_delay_alu instid0(SALU_CYCLE_1)
	s_swappc_b64 s[30:31], s[0:1]
.LBB0_536:                              ;   in Loop: Header=BB0_92 Depth=1
	s_mov_b32 s0, 0
.LBB0_537:                              ;   in Loop: Header=BB0_92 Depth=1
	s_delay_alu instid0(SALU_CYCLE_1)
	s_and_b32 vcc_lo, exec_lo, s0
	s_cbranch_vccz .LBB0_542
; %bb.538:                              ;   in Loop: Header=BB0_92 Depth=1
	s_cmp_eq_u32 s48, 12
	s_mov_b32 s0, -1
	s_cbranch_scc1 .LBB0_540
; %bb.539:                              ;   in Loop: Header=BB0_92 Depth=1
	v_mov_b32_e32 v31, v40
	s_add_u32 s8, s36, 0x1000
	s_addc_u32 s9, s37, 0
	s_mov_b64 s[4:5], s[38:39]
	s_mov_b64 s[10:11], s[34:35]
	s_mov_b32 s12, s41
	s_mov_b32 s13, s40
	;; [unrolled: 1-line block ×3, first 2 shown]
	s_getpc_b64 s[0:1]
	s_add_u32 s0, s0, _Z47ncclDevFunc_Reduce_RING_SIMPLE_Sum_f8e4m3_0_0_1v@rel32@lo+4
	s_addc_u32 s1, s1, _Z47ncclDevFunc_Reduce_RING_SIMPLE_Sum_f8e4m3_0_0_1v@rel32@hi+12
	s_delay_alu instid0(SALU_CYCLE_1)
	s_swappc_b64 s[30:31], s[0:1]
	s_mov_b32 s0, 0
.LBB0_540:                              ;   in Loop: Header=BB0_92 Depth=1
	s_delay_alu instid0(SALU_CYCLE_1)
	s_and_not1_b32 vcc_lo, exec_lo, s0
	s_cbranch_vccnz .LBB0_542
; %bb.541:                              ;   in Loop: Header=BB0_92 Depth=1
	v_mov_b32_e32 v31, v40
	s_add_u32 s8, s36, 0x1000
	s_addc_u32 s9, s37, 0
	s_mov_b64 s[4:5], s[38:39]
	s_mov_b64 s[10:11], s[34:35]
	s_mov_b32 s12, s41
	s_mov_b32 s13, s40
	;; [unrolled: 1-line block ×3, first 2 shown]
	s_getpc_b64 s[0:1]
	s_add_u32 s0, s0, _Z47ncclDevFunc_Reduce_RING_SIMPLE_Sum_f8e5m2_0_0_1v@rel32@lo+4
	s_addc_u32 s1, s1, _Z47ncclDevFunc_Reduce_RING_SIMPLE_Sum_f8e5m2_0_0_1v@rel32@hi+12
	s_delay_alu instid0(SALU_CYCLE_1)
	s_swappc_b64 s[30:31], s[0:1]
.LBB0_542:                              ;   in Loop: Header=BB0_92 Depth=1
	s_mov_b32 s0, 0
.LBB0_543:                              ;   in Loop: Header=BB0_92 Depth=1
	s_delay_alu instid0(SALU_CYCLE_1)
	s_and_not1_b32 vcc_lo, exec_lo, s0
	s_cbranch_vccnz .LBB0_578
; %bb.544:                              ;   in Loop: Header=BB0_92 Depth=1
	s_cmp_gt_u32 s48, 4
	s_mov_b32 s0, -1
	s_cbranch_scc0 .LBB0_565
; %bb.545:                              ;   in Loop: Header=BB0_92 Depth=1
	s_cmp_gt_u32 s48, 7
	s_cbranch_scc0 .LBB0_555
; %bb.546:                              ;   in Loop: Header=BB0_92 Depth=1
	v_cmp_lt_i16_e64 s0, s48, 9
	s_delay_alu instid0(VALU_DEP_1)
	s_and_b32 vcc_lo, exec_lo, s0
	s_mov_b32 s0, -1
	s_cbranch_vccnz .LBB0_552
; %bb.547:                              ;   in Loop: Header=BB0_92 Depth=1
	v_cmp_ne_u16_e64 s0, s48, 9
	s_delay_alu instid0(VALU_DEP_1)
	s_and_b32 vcc_lo, exec_lo, s0
	s_mov_b32 s0, -1
	s_cbranch_vccz .LBB0_549
; %bb.548:                              ;   in Loop: Header=BB0_92 Depth=1
	v_mov_b32_e32 v31, v40
	s_add_u32 s8, s36, 0x1000
	s_addc_u32 s9, s37, 0
	s_mov_b64 s[4:5], s[38:39]
	s_mov_b64 s[10:11], s[34:35]
	s_mov_b32 s12, s41
	s_mov_b32 s13, s40
	;; [unrolled: 1-line block ×3, first 2 shown]
	s_getpc_b64 s[0:1]
	s_add_u32 s0, s0, _Z45ncclDevFunc_Reduce_RING_SIMPLE_Sum_bf16_0_1_1v@rel32@lo+4
	s_addc_u32 s1, s1, _Z45ncclDevFunc_Reduce_RING_SIMPLE_Sum_bf16_0_1_1v@rel32@hi+12
	s_delay_alu instid0(SALU_CYCLE_1)
	s_swappc_b64 s[30:31], s[0:1]
	s_mov_b32 s0, 0
.LBB0_549:                              ;   in Loop: Header=BB0_92 Depth=1
	s_delay_alu instid0(SALU_CYCLE_1)
	s_and_not1_b32 vcc_lo, exec_lo, s0
	s_cbranch_vccnz .LBB0_551
; %bb.550:                              ;   in Loop: Header=BB0_92 Depth=1
	v_mov_b32_e32 v31, v40
	s_add_u32 s8, s36, 0x1000
	s_addc_u32 s9, s37, 0
	s_mov_b64 s[4:5], s[38:39]
	s_mov_b64 s[10:11], s[34:35]
	s_mov_b32 s12, s41
	s_mov_b32 s13, s40
	;; [unrolled: 1-line block ×3, first 2 shown]
	s_getpc_b64 s[0:1]
	s_add_u32 s0, s0, _Z45ncclDevFunc_Reduce_RING_SIMPLE_Sum_bf16_0_0_1v@rel32@lo+4
	s_addc_u32 s1, s1, _Z45ncclDevFunc_Reduce_RING_SIMPLE_Sum_bf16_0_0_1v@rel32@hi+12
	s_delay_alu instid0(SALU_CYCLE_1)
	s_swappc_b64 s[30:31], s[0:1]
.LBB0_551:                              ;   in Loop: Header=BB0_92 Depth=1
	s_mov_b32 s0, 0
.LBB0_552:                              ;   in Loop: Header=BB0_92 Depth=1
	s_delay_alu instid0(SALU_CYCLE_1)
	s_and_not1_b32 vcc_lo, exec_lo, s0
	s_cbranch_vccnz .LBB0_554
; %bb.553:                              ;   in Loop: Header=BB0_92 Depth=1
	v_mov_b32_e32 v31, v40
	s_add_u32 s8, s36, 0x1000
	s_addc_u32 s9, s37, 0
	s_mov_b64 s[4:5], s[38:39]
	s_mov_b64 s[10:11], s[34:35]
	s_mov_b32 s12, s41
	s_mov_b32 s13, s40
	;; [unrolled: 1-line block ×3, first 2 shown]
	s_getpc_b64 s[0:1]
	s_add_u32 s0, s0, _Z44ncclDevFunc_Reduce_RING_SIMPLE_Sum_f64_0_0_1v@rel32@lo+4
	s_addc_u32 s1, s1, _Z44ncclDevFunc_Reduce_RING_SIMPLE_Sum_f64_0_0_1v@rel32@hi+12
	s_delay_alu instid0(SALU_CYCLE_1)
	s_swappc_b64 s[30:31], s[0:1]
.LBB0_554:                              ;   in Loop: Header=BB0_92 Depth=1
	s_mov_b32 s0, 0
.LBB0_555:                              ;   in Loop: Header=BB0_92 Depth=1
	s_delay_alu instid0(SALU_CYCLE_1)
	s_and_b32 vcc_lo, exec_lo, s0
	s_cbranch_vccz .LBB0_564
; %bb.556:                              ;   in Loop: Header=BB0_92 Depth=1
	v_cmp_lt_i16_e64 s0, s48, 6
	s_delay_alu instid0(VALU_DEP_1)
	s_and_b32 vcc_lo, exec_lo, s0
	s_mov_b32 s0, -1
	s_cbranch_vccnz .LBB0_562
; %bb.557:                              ;   in Loop: Header=BB0_92 Depth=1
	v_cmp_ne_u16_e64 s0, s48, 6
	s_delay_alu instid0(VALU_DEP_1)
	s_and_b32 vcc_lo, exec_lo, s0
	s_mov_b32 s0, -1
	s_cbranch_vccz .LBB0_559
; %bb.558:                              ;   in Loop: Header=BB0_92 Depth=1
	v_mov_b32_e32 v31, v40
	s_add_u32 s8, s36, 0x1000
	s_addc_u32 s9, s37, 0
	s_mov_b64 s[4:5], s[38:39]
	s_mov_b64 s[10:11], s[34:35]
	s_mov_b32 s12, s41
	s_mov_b32 s13, s40
	s_mov_b32 s14, s33
	s_getpc_b64 s[0:1]
	s_add_u32 s0, s0, _Z44ncclDevFunc_Reduce_RING_SIMPLE_Sum_f32_0_0_1v@rel32@lo+4
	s_addc_u32 s1, s1, _Z44ncclDevFunc_Reduce_RING_SIMPLE_Sum_f32_0_0_1v@rel32@hi+12
	s_delay_alu instid0(SALU_CYCLE_1)
	s_swappc_b64 s[30:31], s[0:1]
	s_mov_b32 s0, 0
.LBB0_559:                              ;   in Loop: Header=BB0_92 Depth=1
	s_delay_alu instid0(SALU_CYCLE_1)
	s_and_not1_b32 vcc_lo, exec_lo, s0
	s_cbranch_vccnz .LBB0_561
; %bb.560:                              ;   in Loop: Header=BB0_92 Depth=1
	v_mov_b32_e32 v31, v40
	s_add_u32 s8, s36, 0x1000
	s_addc_u32 s9, s37, 0
	s_mov_b64 s[4:5], s[38:39]
	s_mov_b64 s[10:11], s[34:35]
	s_mov_b32 s12, s41
	s_mov_b32 s13, s40
	;; [unrolled: 1-line block ×3, first 2 shown]
	s_getpc_b64 s[0:1]
	s_add_u32 s0, s0, _Z44ncclDevFunc_Reduce_RING_SIMPLE_Sum_f16_0_0_1v@rel32@lo+4
	s_addc_u32 s1, s1, _Z44ncclDevFunc_Reduce_RING_SIMPLE_Sum_f16_0_0_1v@rel32@hi+12
	s_delay_alu instid0(SALU_CYCLE_1)
	s_swappc_b64 s[30:31], s[0:1]
.LBB0_561:                              ;   in Loop: Header=BB0_92 Depth=1
	s_mov_b32 s0, 0
.LBB0_562:                              ;   in Loop: Header=BB0_92 Depth=1
	s_delay_alu instid0(SALU_CYCLE_1)
	s_and_not1_b32 vcc_lo, exec_lo, s0
	s_cbranch_vccnz .LBB0_564
; %bb.563:                              ;   in Loop: Header=BB0_92 Depth=1
	v_mov_b32_e32 v31, v40
	s_add_u32 s8, s36, 0x1000
	s_addc_u32 s9, s37, 0
	s_mov_b64 s[4:5], s[38:39]
	s_mov_b64 s[10:11], s[34:35]
	s_mov_b32 s12, s41
	s_mov_b32 s13, s40
	;; [unrolled: 1-line block ×3, first 2 shown]
	s_getpc_b64 s[0:1]
	s_add_u32 s0, s0, _Z44ncclDevFunc_Reduce_RING_SIMPLE_Sum_u64_0_0_1v@rel32@lo+4
	s_addc_u32 s1, s1, _Z44ncclDevFunc_Reduce_RING_SIMPLE_Sum_u64_0_0_1v@rel32@hi+12
	s_delay_alu instid0(SALU_CYCLE_1)
	s_swappc_b64 s[30:31], s[0:1]
.LBB0_564:                              ;   in Loop: Header=BB0_92 Depth=1
	s_mov_b32 s0, 0
.LBB0_565:                              ;   in Loop: Header=BB0_92 Depth=1
	s_delay_alu instid0(SALU_CYCLE_1)
	s_and_not1_b32 vcc_lo, exec_lo, s0
	s_cbranch_vccnz .LBB0_578
; %bb.566:                              ;   in Loop: Header=BB0_92 Depth=1
	s_cmp_gt_u32 s48, 1
	s_mov_b32 s0, -1
	s_cbranch_scc0 .LBB0_576
; %bb.567:                              ;   in Loop: Header=BB0_92 Depth=1
	v_cmp_lt_i16_e64 s0, s48, 3
	s_delay_alu instid0(VALU_DEP_1)
	s_and_b32 vcc_lo, exec_lo, s0
	s_mov_b32 s0, -1
	s_cbranch_vccnz .LBB0_573
; %bb.568:                              ;   in Loop: Header=BB0_92 Depth=1
	v_cmp_ne_u16_e64 s0, s48, 3
	s_delay_alu instid0(VALU_DEP_1)
	s_and_b32 vcc_lo, exec_lo, s0
	s_mov_b32 s0, -1
	s_cbranch_vccz .LBB0_570
; %bb.569:                              ;   in Loop: Header=BB0_92 Depth=1
	v_mov_b32_e32 v31, v40
	s_add_u32 s8, s36, 0x1000
	s_addc_u32 s9, s37, 0
	s_mov_b64 s[4:5], s[38:39]
	s_mov_b64 s[10:11], s[34:35]
	s_mov_b32 s12, s41
	s_mov_b32 s13, s40
	;; [unrolled: 1-line block ×3, first 2 shown]
	s_getpc_b64 s[0:1]
	s_add_u32 s0, s0, _Z44ncclDevFunc_Reduce_RING_SIMPLE_Sum_u32_0_0_1v@rel32@lo+4
	s_addc_u32 s1, s1, _Z44ncclDevFunc_Reduce_RING_SIMPLE_Sum_u32_0_0_1v@rel32@hi+12
	s_delay_alu instid0(SALU_CYCLE_1)
	s_swappc_b64 s[30:31], s[0:1]
	s_mov_b32 s0, 0
.LBB0_570:                              ;   in Loop: Header=BB0_92 Depth=1
	s_delay_alu instid0(SALU_CYCLE_1)
	s_and_not1_b32 vcc_lo, exec_lo, s0
	s_cbranch_vccnz .LBB0_572
; %bb.571:                              ;   in Loop: Header=BB0_92 Depth=1
	v_mov_b32_e32 v31, v40
	s_add_u32 s8, s36, 0x1000
	s_addc_u32 s9, s37, 0
	s_mov_b64 s[4:5], s[38:39]
	s_mov_b64 s[10:11], s[34:35]
	s_mov_b32 s12, s41
	s_mov_b32 s13, s40
	;; [unrolled: 1-line block ×3, first 2 shown]
	s_getpc_b64 s[0:1]
	s_add_u32 s0, s0, _Z43ncclDevFunc_Reduce_RING_SIMPLE_Sum_u8_0_0_1v@rel32@lo+4
	s_addc_u32 s1, s1, _Z43ncclDevFunc_Reduce_RING_SIMPLE_Sum_u8_0_0_1v@rel32@hi+12
	s_delay_alu instid0(SALU_CYCLE_1)
	s_swappc_b64 s[30:31], s[0:1]
.LBB0_572:                              ;   in Loop: Header=BB0_92 Depth=1
	s_mov_b32 s0, 0
.LBB0_573:                              ;   in Loop: Header=BB0_92 Depth=1
	s_delay_alu instid0(SALU_CYCLE_1)
	s_and_not1_b32 vcc_lo, exec_lo, s0
	s_cbranch_vccnz .LBB0_575
; %bb.574:                              ;   in Loop: Header=BB0_92 Depth=1
	v_mov_b32_e32 v31, v40
	s_add_u32 s8, s36, 0x1000
	s_addc_u32 s9, s37, 0
	s_mov_b64 s[4:5], s[38:39]
	s_mov_b64 s[10:11], s[34:35]
	s_mov_b32 s12, s41
	s_mov_b32 s13, s40
	;; [unrolled: 1-line block ×3, first 2 shown]
	s_getpc_b64 s[0:1]
	s_add_u32 s0, s0, _Z46ncclDevFunc_Broadcast_RING_SIMPLE_Sum_i8_0_0_1v@rel32@lo+4
	s_addc_u32 s1, s1, _Z46ncclDevFunc_Broadcast_RING_SIMPLE_Sum_i8_0_0_1v@rel32@hi+12
	s_delay_alu instid0(SALU_CYCLE_1)
	s_swappc_b64 s[30:31], s[0:1]
.LBB0_575:                              ;   in Loop: Header=BB0_92 Depth=1
	s_mov_b32 s0, 0
.LBB0_576:                              ;   in Loop: Header=BB0_92 Depth=1
	s_delay_alu instid0(SALU_CYCLE_1)
	s_and_b32 vcc_lo, exec_lo, s0
	s_cbranch_vccz .LBB0_578
; %bb.577:                              ;   in Loop: Header=BB0_92 Depth=1
	v_mov_b32_e32 v31, v40
	s_add_u32 s8, s36, 0x1000
	s_addc_u32 s9, s37, 0
	s_mov_b64 s[4:5], s[38:39]
	s_mov_b64 s[10:11], s[34:35]
	s_mov_b32 s12, s41
	s_mov_b32 s13, s40
	;; [unrolled: 1-line block ×3, first 2 shown]
	s_getpc_b64 s[0:1]
	s_add_u32 s0, s0, _Z42ncclDevFunc_Broadcast_RING_LL_Sum_i8_0_0_1v@rel32@lo+4
	s_addc_u32 s1, s1, _Z42ncclDevFunc_Broadcast_RING_LL_Sum_i8_0_0_1v@rel32@hi+12
	s_delay_alu instid0(SALU_CYCLE_1)
	s_swappc_b64 s[30:31], s[0:1]
.LBB0_578:                              ;   in Loop: Header=BB0_92 Depth=1
	ds_load_b32 v0, v41 offset:17060
	s_waitcnt lgkmcnt(0)
	v_cmp_eq_u32_e32 vcc_lo, -1, v0
	v_readfirstlane_b32 s2, v0
	s_cbranch_vccnz .LBB0_593
; %bb.579:                              ;   in Loop: Header=BB0_92 Depth=1
	s_waitcnt_vscnt null, 0x0
	s_barrier
	buffer_gl0_inv
	s_and_saveexec_b32 s0, s45
	s_cbranch_execz .LBB0_583
; %bb.580:                              ;   in Loop: Header=BB0_92 Depth=1
	s_and_saveexec_b32 s1, s43
	s_cbranch_execz .LBB0_582
; %bb.581:                              ;   in Loop: Header=BB0_92 Depth=1
	v_mov_b32_e32 v42, v41
	ds_store_b64 v41, v[41:42] offset:21208
.LBB0_582:                              ;   in Loop: Header=BB0_92 Depth=1
	s_or_b32 exec_lo, exec_lo, s1
	v_mov_b32_e32 v42, v41
	ds_store_b64 v44, v[41:42]
.LBB0_583:                              ;   in Loop: Header=BB0_92 Depth=1
	s_or_b32 exec_lo, exec_lo, s0
	s_and_saveexec_b32 s0, s42
	s_cbranch_execz .LBB0_595
; %bb.584:                              ;   in Loop: Header=BB0_92 Depth=1
	ds_load_b32 v6, v41 offset:17068
	ds_load_b64 v[2:3], v41 offset:17040
	s_waitcnt lgkmcnt(1)
	v_ashrrev_i32_e32 v5, 31, v6
	s_waitcnt lgkmcnt(0)
	v_add_co_u32 v0, vcc_lo, v2, 1
	v_add_co_ci_u32_e32 v1, vcc_lo, 0, v3, vcc_lo
	v_add_co_u32 v4, vcc_lo, v2, v6
	v_add_co_ci_u32_e32 v5, vcc_lo, v3, v5, vcc_lo
	s_delay_alu instid0(VALU_DEP_1)
	v_cmp_gt_u64_e32 vcc_lo, v[0:1], v[4:5]
	s_cbranch_vccnz .LBB0_594
; %bb.585:                              ;   in Loop: Header=BB0_92 Depth=1
	ds_load_u8 v7, v41 offset:17064
	s_movk_i32 s1, 0x4f0e
	s_movk_i32 s3, 0x4eda
	s_branch .LBB0_587
.LBB0_586:                              ;   in Loop: Header=BB0_587 Depth=2
	s_waitcnt lgkmcnt(0)
	v_ashrrev_i32_e32 v5, 31, v6
	v_add_co_u32 v0, vcc_lo, v0, 1
	v_add_co_ci_u32_e32 v1, vcc_lo, 0, v1, vcc_lo
	v_add_co_u32 v4, vcc_lo, v2, v6
	s_delay_alu instid0(VALU_DEP_4) | instskip(SKIP_2) | instid1(VALU_DEP_1)
	v_add_co_ci_u32_e32 v5, vcc_lo, v3, v5, vcc_lo
	s_add_i32 s1, s1, 64
	s_addk_i32 s3, 0x80
	v_cmp_le_u64_e32 vcc_lo, v[0:1], v[4:5]
	s_cbranch_vccz .LBB0_594
.LBB0_587:                              ;   Parent Loop BB0_92 Depth=1
                                        ; =>  This Inner Loop Header: Depth=2
	s_waitcnt lgkmcnt(0)
	v_and_b32_e32 v4, 0xff, v7
	s_delay_alu instid0(VALU_DEP_1)
	v_cmp_ne_u16_e32 vcc_lo, 0, v4
	s_cbranch_vccz .LBB0_592
; %bb.588:                              ;   in Loop: Header=BB0_587 Depth=2
	v_mov_b32_e32 v4, s3
	ds_load_u8 v4, v4
	s_waitcnt lgkmcnt(0)
	v_and_b32_e32 v4, 1, v4
	s_cbranch_execnz .LBB0_590
.LBB0_589:                              ;   in Loop: Header=BB0_587 Depth=2
	v_mov_b32_e32 v4, s1
	ds_load_u16 v4, v4
	s_waitcnt lgkmcnt(0)
	v_bfe_u32 v4, v4, 6, 1
.LBB0_590:                              ;   in Loop: Header=BB0_587 Depth=2
	s_delay_alu instid0(VALU_DEP_1)
	v_cmp_eq_u32_e32 vcc_lo, 0, v4
	s_cbranch_vccnz .LBB0_586
; %bb.591:                              ;   in Loop: Header=BB0_587 Depth=2
	s_sendmsg_rtn_b64 s[4:5], sendmsg(MSG_RTN_GET_REALTIME)
	ds_load_u8 v7, v41 offset:17064
	ds_load_b32 v2, v41 offset:16560
	ds_load_b64 v[4:5], v41 offset:16664
	v_and_b32_e32 v6, 63, v0
	s_waitcnt lgkmcnt(0)
	v_ashrrev_i32_e32 v3, 31, v2
	s_delay_alu instid0(VALU_DEP_1) | instskip(NEXT) | instid1(VALU_DEP_3)
	v_lshlrev_b64 v[8:9], 10, v[2:3]
	v_dual_mov_b32 v3, s5 :: v_dual_lshlrev_b32 v6, 4, v6
	v_mov_b32_e32 v2, s4
	s_delay_alu instid0(VALU_DEP_3) | instskip(NEXT) | instid1(VALU_DEP_4)
	v_add_co_u32 v4, vcc_lo, v4, v8
	v_add_co_ci_u32_e32 v5, vcc_lo, v5, v9, vcc_lo
	s_delay_alu instid0(VALU_DEP_2) | instskip(NEXT) | instid1(VALU_DEP_2)
	v_add_co_u32 v4, vcc_lo, v4, v6
	v_add_co_ci_u32_e32 v5, vcc_lo, 0, v5, vcc_lo
	flat_store_b128 v[4:5], v[0:3]
	ds_load_b64 v[2:3], v41 offset:17040
	ds_load_b32 v6, v41 offset:17068
	s_branch .LBB0_586
.LBB0_592:                              ;   in Loop: Header=BB0_587 Depth=2
                                        ; implicit-def: $vgpr4
	s_branch .LBB0_589
.LBB0_593:                              ;   in Loop: Header=BB0_92 Depth=1
	s_cbranch_execz .LBB0_92
	s_branch .LBB0_78
.LBB0_594:                              ;   in Loop: Header=BB0_92 Depth=1
	ds_store_b64 v41, v[4:5] offset:17040
.LBB0_595:                              ;   in Loop: Header=BB0_92 Depth=1
	s_or_b32 exec_lo, exec_lo, s0
	v_mov_b32_e32 v9, v43
	s_mov_b32 s8, 0
                                        ; implicit-def: $vgpr0_vgpr1_vgpr2_vgpr3
	s_branch .LBB0_598
.LBB0_596:                              ;   in Loop: Header=BB0_598 Depth=2
	s_or_b32 exec_lo, exec_lo, s5
	v_mov_b32_e32 v4, v9
	s_mov_b32 s5, s2
.LBB0_597:                              ;   in Loop: Header=BB0_598 Depth=2
	s_delay_alu instid0(VALU_DEP_1)
	v_mov_b32_e32 v9, v4
	s_and_not1_b32 vcc_lo, exec_lo, s1
	s_mov_b32 s2, s5
	s_cbranch_vccz .LBB0_91
.LBB0_598:                              ;   Parent Loop BB0_92 Depth=1
                                        ; =>  This Inner Loop Header: Depth=2
	s_ashr_i32 s3, s2, 31
	s_delay_alu instid0(SALU_CYCLE_1) | instskip(NEXT) | instid1(SALU_CYCLE_1)
	s_lshl_b64 s[0:1], s[2:3], 4
	s_add_u32 s0, s46, s0
	s_addc_u32 s1, s47, s1
	s_load_b128 s[4:7], s[0:1], 0x0
	s_mov_b32 s0, exec_lo
	s_waitcnt lgkmcnt(0)
	v_and_b32_e32 v4, s6, v46
	s_delay_alu instid0(VALU_DEP_1)
	v_cmpx_ne_u32_e32 0, v4
	s_cbranch_execz .LBB0_600
; %bb.599:                              ;   in Loop: Header=BB0_598 Depth=2
	v_and_b32_e32 v4, s6, v47
	s_delay_alu instid0(VALU_DEP_1)
	v_bcnt_u32_b32 v4, v4, v45
	ds_store_b8 v4, v43
.LBB0_600:                              ;   in Loop: Header=BB0_598 Depth=2
	s_or_b32 exec_lo, exec_lo, s0
	v_and_b32_e32 v4, s7, v46
	s_bcnt1_i32_b32 s0, s6
	s_mov_b32 s1, exec_lo
	s_delay_alu instid0(VALU_DEP_1)
	v_cmpx_ne_u32_e32 0, v4
	s_cbranch_execz .LBB0_602
; %bb.601:                              ;   in Loop: Header=BB0_598 Depth=2
	v_and_b32_e32 v4, s7, v47
	s_delay_alu instid0(VALU_DEP_1) | instskip(NEXT) | instid1(VALU_DEP_1)
	v_bcnt_u32_b32 v4, v4, 0
	v_add3_u32 v4, v45, s0, v4
	ds_store_b8 v4, v56
.LBB0_602:                              ;   in Loop: Header=BB0_598 Depth=2
	s_or_b32 exec_lo, exec_lo, s1
	s_bcnt1_i32_b32 s6, s7
	s_bfe_u32 s3, s4, 0x2000f
	s_add_i32 s6, s6, s0
	s_cmp_lt_i32 s3, 1
	s_cbranch_scc1 .LBB0_605
; %bb.603:                              ;   in Loop: Header=BB0_598 Depth=2
	s_cmp_lg_u32 s3, 1
	s_cbranch_scc0 .LBB0_606
; %bb.604:                              ;   in Loop: Header=BB0_598 Depth=2
	v_mul_u32_u24_e64 v4, s6, 20
	s_mov_b32 s1, 20
	s_movk_i32 s7, 0x140
	s_cbranch_execz .LBB0_607
	s_branch .LBB0_608
.LBB0_605:                              ;   in Loop: Header=BB0_598 Depth=2
                                        ; implicit-def: $vgpr4
                                        ; implicit-def: $sgpr7
                                        ; implicit-def: $sgpr1
	s_branch .LBB0_609
.LBB0_606:                              ;   in Loop: Header=BB0_598 Depth=2
                                        ; implicit-def: $vgpr4
                                        ; implicit-def: $sgpr7
                                        ; implicit-def: $sgpr1
.LBB0_607:                              ;   in Loop: Header=BB0_598 Depth=2
	s_lshl_b32 s0, s6, 3
	s_mov_b32 s1, 8
	v_mov_b32_e32 v4, s0
	s_movk_i32 s7, 0x80
.LBB0_608:                              ;   in Loop: Header=BB0_598 Depth=2
	s_cbranch_execnz .LBB0_610
.LBB0_609:                              ;   in Loop: Header=BB0_598 Depth=2
	s_lshl_b32 s0, s6, 2
	s_mov_b32 s7, 64
	v_mov_b32_e32 v4, s0
	s_mov_b32 s1, 4
.LBB0_610:                              ;   in Loop: Header=BB0_598 Depth=2
	v_cmp_eq_u32_e64 s0, 0, v9
	s_delay_alu instid0(VALU_DEP_1)
	s_and_saveexec_b32 s9, s0
	s_cbranch_execz .LBB0_612
; %bb.611:                              ;   in Loop: Header=BB0_598 Depth=2
	v_mov_b32_e32 v5, s7
	ds_store_b32 v41, v5 offset:17072
	s_or_b32 exec_lo, exec_lo, s9
	s_delay_alu instid0(SALU_CYCLE_1)
	s_mov_b32 s9, exec_lo
	v_cmpx_lt_i32_e64 v9, v4
	s_cbranch_execz .LBB0_620
	s_branch .LBB0_613
.LBB0_612:                              ;   in Loop: Header=BB0_598 Depth=2
	s_or_b32 exec_lo, exec_lo, s9
	s_delay_alu instid0(SALU_CYCLE_1)
	s_mov_b32 s9, exec_lo
	v_cmpx_lt_i32_e64 v9, v4
	s_cbranch_execz .LBB0_620
.LBB0_613:                              ;   in Loop: Header=BB0_598 Depth=2
	v_cvt_f32_u32_e32 v4, s1
	s_sub_i32 s10, 0, s1
	v_sub_nc_u32_e32 v6, 0, v9
	s_delay_alu instid0(VALU_DEP_2) | instskip(NEXT) | instid1(VALU_DEP_1)
	v_rcp_iflag_f32_e32 v4, v4
	v_max_i32_e32 v6, v9, v6
	s_waitcnt_depctr 0xfff
	v_mul_f32_e32 v4, 0x4f7ffffe, v4
	s_delay_alu instid0(VALU_DEP_1) | instskip(NEXT) | instid1(VALU_DEP_1)
	v_cvt_u32_f32_e32 v4, v4
	v_mul_lo_u32 v5, s10, v4
	s_delay_alu instid0(VALU_DEP_1) | instskip(NEXT) | instid1(VALU_DEP_1)
	v_mul_hi_u32 v5, v4, v5
	v_add_nc_u32_e32 v4, v4, v5
	s_delay_alu instid0(VALU_DEP_1) | instskip(NEXT) | instid1(VALU_DEP_1)
	v_mul_hi_u32 v4, v6, v4
	v_mul_lo_u32 v5, v4, s1
	s_delay_alu instid0(VALU_DEP_1) | instskip(SKIP_1) | instid1(VALU_DEP_2)
	v_sub_nc_u32_e32 v5, v6, v5
	v_add_nc_u32_e32 v6, 1, v4
	v_subrev_nc_u32_e32 v7, s1, v5
	v_cmp_le_u32_e32 vcc_lo, s1, v5
	s_delay_alu instid0(VALU_DEP_2) | instskip(SKIP_1) | instid1(VALU_DEP_2)
	v_dual_cndmask_b32 v5, v5, v7 :: v_dual_cndmask_b32 v4, v4, v6
	v_ashrrev_i32_e32 v7, 31, v9
	v_cmp_le_u32_e32 vcc_lo, s1, v5
	s_delay_alu instid0(VALU_DEP_3) | instskip(SKIP_2) | instid1(VALU_DEP_1)
	v_add_nc_u32_e32 v6, 1, v4
	ds_load_u8 v5, v41 offset:16536
	v_cndmask_b32_e32 v4, v4, v6, vcc_lo
	v_xor_b32_e32 v4, v4, v7
	s_delay_alu instid0(VALU_DEP_1) | instskip(NEXT) | instid1(VALU_DEP_1)
	v_sub_nc_u32_e32 v10, v4, v7
	v_add_nc_u32_e32 v4, v45, v10
	v_mul_lo_u32 v6, v10, s1
	ds_load_u8 v4, v4
	s_waitcnt lgkmcnt(1)
	v_cmp_ne_u16_e64 s1, 0, v5
	v_sub_nc_u32_e32 v5, v9, v6
	s_delay_alu instid0(VALU_DEP_2) | instskip(NEXT) | instid1(VALU_DEP_1)
	s_and_b32 vcc_lo, exec_lo, s1
	v_lshlrev_b32_e32 v11, 4, v5
	s_cbranch_vccz .LBB0_616
; %bb.614:                              ;   in Loop: Header=BB0_598 Depth=2
	s_and_b32 vcc_lo, exec_lo, s1
	s_cbranch_vccz .LBB0_617
.LBB0_615:                              ;   in Loop: Header=BB0_598 Depth=2
	ds_load_b32 v12, v41 offset:16540
	ds_load_b64 v[6:7], v41 offset:16544
	s_waitcnt lgkmcnt(2)
	v_mul_u32_u24_e32 v4, s7, v4
	v_lshlrev_b32_e32 v8, 4, v5
	s_delay_alu instid0(VALU_DEP_1) | instskip(SKIP_1) | instid1(VALU_DEP_1)
	v_add3_u32 v4, v8, s5, v4
	s_waitcnt lgkmcnt(1)
	v_and_b32_e32 v4, v12, v4
	s_waitcnt lgkmcnt(0)
	s_delay_alu instid0(VALU_DEP_1)
	v_add_co_u32 v4, vcc_lo, v6, v4
	v_add_co_ci_u32_e32 v5, vcc_lo, 0, v7, vcc_lo
	flat_load_b128 v[4:7], v[4:5]
	s_cbranch_execz .LBB0_618
	s_branch .LBB0_619
.LBB0_616:                              ;   in Loop: Header=BB0_598 Depth=2
	s_waitcnt lgkmcnt(0)
	v_mul_u32_u24_e32 v0, s7, v4
	v_lshlrev_b32_e32 v1, 4, v5
	s_delay_alu instid0(VALU_DEP_1)
	v_add3_u32 v0, v1, s5, v0
	global_load_b128 v[0:3], v0, s[36:37]
	s_and_b32 vcc_lo, exec_lo, s1
	s_cbranch_vccnz .LBB0_615
.LBB0_617:                              ;   in Loop: Header=BB0_598 Depth=2
                                        ; implicit-def: $vgpr4_vgpr5_vgpr6_vgpr7
                                        ; implicit-def: $vgpr8
.LBB0_618:                              ;   in Loop: Header=BB0_598 Depth=2
	s_waitcnt vmcnt(0) lgkmcnt(0)
	v_dual_mov_b32 v7, v3 :: v_dual_mov_b32 v6, v2
	v_dual_mov_b32 v8, v11 :: v_dual_mov_b32 v5, v1
	v_mov_b32_e32 v4, v0
.LBB0_619:                              ;   in Loop: Header=BB0_598 Depth=2
	s_waitcnt vmcnt(0)
	v_add_nc_u32_e32 v0, s8, v10
	s_delay_alu instid0(VALU_DEP_1)
	v_mad_u64_u32 v[10:11], null, v0, s7, v[8:9]
	s_waitcnt lgkmcnt(0)
	v_dual_mov_b32 v0, v4 :: v_dual_mov_b32 v3, v7
	v_dual_mov_b32 v1, v5 :: v_dual_mov_b32 v2, v6
	ds_store_b128 v10, v[4:7] offset:20176
.LBB0_620:                              ;   in Loop: Header=BB0_598 Depth=2
	s_or_b32 exec_lo, exec_lo, s9
	s_bitcmp0_b32 s4, 14
	s_cselect_b32 s1, -1, 0
	s_delay_alu instid0(SALU_CYCLE_1)
	s_and_b32 vcc_lo, exec_lo, s1
	s_cbranch_vccnz .LBB0_622
; %bb.621:                              ;   in Loop: Header=BB0_598 Depth=2
	v_cmp_gt_i32_e32 vcc_lo, 64, v9
	s_and_b32 s5, s4, 0x3fff
	s_delay_alu instid0(SALU_CYCLE_1) | instskip(SKIP_1) | instid1(VALU_DEP_1)
	s_add_i32 s5, s5, s2
	v_cndmask_b32_e64 v4, 0, s44, vcc_lo
	v_add3_u32 v4, v9, v4, 0xffffffc0
	s_add_i32 s8, s6, s8
	s_cbranch_execnz .LBB0_597
	s_branch .LBB0_623
.LBB0_622:                              ;   in Loop: Header=BB0_598 Depth=2
                                        ; implicit-def: $vgpr4
                                        ; implicit-def: $sgpr5
	s_add_i32 s8, s6, s8
.LBB0_623:                              ;   in Loop: Header=BB0_598 Depth=2
	s_and_saveexec_b32 s5, s0
	s_cbranch_execz .LBB0_596
; %bb.624:                              ;   in Loop: Header=BB0_598 Depth=2
	s_and_b32 s0, s4, 0x3fff
	v_dual_mov_b32 v6, s3 :: v_dual_mov_b32 v7, s8
	s_add_i32 s6, s0, s2
	s_cmp_lg_u32 s0, 0
	v_mov_b32_e32 v9, 0
	s_cselect_b32 s0, s6, -1
	s_delay_alu instid0(SALU_CYCLE_1) | instskip(SKIP_1) | instid1(SALU_CYCLE_1)
	v_dual_mov_b32 v4, s2 :: v_dual_mov_b32 v5, s0
	s_lshr_b32 s0, s4, 17
	v_mov_b32_e32 v8, s0
	ds_store_b64 v41, v[4:5] offset:17056
	ds_store_b8 v41, v6 offset:17064
	ds_store_b32 v41, v7 offset:17068
	ds_store_b16 v41, v8 offset:17066
	s_branch .LBB0_596
	.section	.rodata,"a",@progbits
	.p2align	6, 0x0
	.amdhsa_kernel _Z23ncclDevKernel_Generic_124ncclDevKernelArgsStorageILm4096EE
		.amdhsa_group_segment_fixed_size 21216
		.amdhsa_private_segment_fixed_size 0
		.amdhsa_kernarg_size 4352
		.amdhsa_user_sgpr_count 13
		.amdhsa_user_sgpr_dispatch_ptr 1
		.amdhsa_user_sgpr_queue_ptr 0
		.amdhsa_user_sgpr_kernarg_segment_ptr 1
		.amdhsa_user_sgpr_dispatch_id 1
		.amdhsa_user_sgpr_private_segment_size 0
		.amdhsa_wavefront_size32 1
		.amdhsa_uses_dynamic_stack 1
		.amdhsa_enable_private_segment 1
		.amdhsa_system_sgpr_workgroup_id_x 1
		.amdhsa_system_sgpr_workgroup_id_y 1
		.amdhsa_system_sgpr_workgroup_id_z 1
		.amdhsa_system_sgpr_workgroup_info 0
		.amdhsa_system_vgpr_workitem_id 2
		.amdhsa_next_free_vgpr 57
		.amdhsa_next_free_sgpr 49
		.amdhsa_reserve_vcc 1
		.amdhsa_float_round_mode_32 0
		.amdhsa_float_round_mode_16_64 0
		.amdhsa_float_denorm_mode_32 3
		.amdhsa_float_denorm_mode_16_64 3
		.amdhsa_dx10_clamp 1
		.amdhsa_ieee_mode 1
		.amdhsa_fp16_overflow 0
		.amdhsa_workgroup_processor_mode 1
		.amdhsa_memory_ordered 1
		.amdhsa_forward_progress 0
		.amdhsa_shared_vgpr_count 0
		.amdhsa_exception_fp_ieee_invalid_op 0
		.amdhsa_exception_fp_denorm_src 0
		.amdhsa_exception_fp_ieee_div_zero 0
		.amdhsa_exception_fp_ieee_overflow 0
		.amdhsa_exception_fp_ieee_underflow 0
		.amdhsa_exception_fp_ieee_inexact 0
		.amdhsa_exception_int_div_zero 0
	.end_amdhsa_kernel
	.text
.Lfunc_end0:
	.size	_Z23ncclDevKernel_Generic_124ncclDevKernelArgsStorageILm4096EE, .Lfunc_end0-_Z23ncclDevKernel_Generic_124ncclDevKernelArgsStorageILm4096EE
                                        ; -- End function
	.section	.AMDGPU.csdata,"",@progbits
; Kernel info:
; codeLenInByte = 17472
; NumSgprs: 51
; NumVgprs: 57
; ScratchSize: 0
; MemoryBound: 1
; FloatMode: 240
; IeeeMode: 1
; LDSByteSize: 21216 bytes/workgroup (compile time only)
; SGPRBlocks: 6
; VGPRBlocks: 7
; NumSGPRsForWavesPerEU: 51
; NumVGPRsForWavesPerEU: 57
; Occupancy: 12
; WaveLimiterHint : 0
; COMPUTE_PGM_RSRC2:SCRATCH_EN: 1
; COMPUTE_PGM_RSRC2:USER_SGPR: 13
; COMPUTE_PGM_RSRC2:TRAP_HANDLER: 0
; COMPUTE_PGM_RSRC2:TGID_X_EN: 1
; COMPUTE_PGM_RSRC2:TGID_Y_EN: 1
; COMPUTE_PGM_RSRC2:TGID_Z_EN: 1
; COMPUTE_PGM_RSRC2:TIDIG_COMP_CNT: 2
	.text
	.protected	_Z23ncclDevKernel_Generic_224ncclDevKernelArgsStorageILm4096EE ; -- Begin function _Z23ncclDevKernel_Generic_224ncclDevKernelArgsStorageILm4096EE
	.globl	_Z23ncclDevKernel_Generic_224ncclDevKernelArgsStorageILm4096EE
	.p2align	8
	.type	_Z23ncclDevKernel_Generic_224ncclDevKernelArgsStorageILm4096EE,@function
_Z23ncclDevKernel_Generic_224ncclDevKernelArgsStorageILm4096EE: ; @_Z23ncclDevKernel_Generic_224ncclDevKernelArgsStorageILm4096EE
; %bb.0:
	v_mov_b32_e32 v40, v0
	s_mov_b32 s33, s15
	s_mov_b32 s40, s14
	;; [unrolled: 1-line block ×3, first 2 shown]
	s_mov_b64 s[34:35], s[4:5]
	v_and_b32_e32 v9, 0x3ff, v40
	s_mov_b64 s[36:37], s[2:3]
	s_mov_b64 s[38:39], s[0:1]
	s_mov_b32 s0, exec_lo
	s_mov_b32 s32, 0
	v_cmpx_gt_u32_e32 12, v9
	s_cbranch_execz .LBB1_2
; %bb.1:
	v_lshlrev_b32_e32 v0, 2, v9
	global_load_b32 v1, v0, s[36:37]
	s_waitcnt vmcnt(0)
	ds_store_b32 v0, v1 offset:16512
.LBB1_2:
	s_or_b32 exec_lo, exec_lo, s0
	s_load_b32 s4, s[36:37], 0x100c
	v_lshrrev_b32_e32 v10, 5, v9
	s_mov_b32 s0, exec_lo
	s_delay_alu instid0(VALU_DEP_1)
	v_cmpx_lt_i32_e32 0, v10
	s_xor_b32 s0, exec_lo, s0
	s_cbranch_execz .LBB1_16
; %bb.3:
	s_mov_b32 s1, exec_lo
	v_cmpx_lt_i32_e32 2, v10
	s_xor_b32 s1, exec_lo, s1
	s_cbranch_execz .LBB1_8
; %bb.4:
	s_mov_b32 s2, exec_lo
	v_cmpx_eq_u32_e32 3, v10
	s_cbranch_execz .LBB1_7
; %bb.5:
	v_cmp_eq_u32_e32 vcc_lo, 0x60, v9
	s_and_b32 exec_lo, exec_lo, vcc_lo
	s_cbranch_execz .LBB1_7
; %bb.6:
	v_mov_b32_e32 v0, 0
	ds_store_b32 v0, v0 offset:16564
.LBB1_7:
	s_or_b32 exec_lo, exec_lo, s2
.LBB1_8:
	s_and_not1_saveexec_b32 s1, s1
	s_cbranch_execz .LBB1_15
; %bb.9:
	s_mov_b32 s2, exec_lo
	v_cmpx_eq_u32_e32 1, v10
	s_cbranch_execz .LBB1_14
; %bb.10:
	v_cmp_gt_u32_e32 vcc_lo, 40, v9
	s_and_b32 exec_lo, exec_lo, vcc_lo
	s_cbranch_execz .LBB1_14
; %bb.11:
	s_mov_b32 s3, exec_lo
	v_cmpx_eq_u32_e32 32, v9
	s_cbranch_execz .LBB1_13
; %bb.12:
	v_mov_b32_e32 v0, 0
	s_delay_alu instid0(VALU_DEP_1)
	v_mov_b32_e32 v1, v0
	ds_store_b64 v0, v[0:1] offset:21208
.LBB1_13:
	s_or_b32 exec_lo, exec_lo, s3
	v_mov_b32_e32 v0, 0
	v_mul_u32_u24_e32 v2, 0x160, v9
	s_delay_alu instid0(VALU_DEP_2)
	v_mov_b32_e32 v1, v0
	ds_store_b64 v2, v[0:1] offset:6104
.LBB1_14:
	s_or_b32 exec_lo, exec_lo, s2
.LBB1_15:
	s_delay_alu instid0(SALU_CYCLE_1)
	s_or_b32 exec_lo, exec_lo, s1
.LBB1_16:
	s_and_not1_saveexec_b32 s5, s0
	s_cbranch_execz .LBB1_32
; %bb.17:
	s_load_b64 s[2:3], s[36:37], 0x8
	v_lshlrev_b64 v[0:1], v9, 1
	s_mov_b32 s6, 0
	s_mov_b32 s1, exec_lo
                                        ; implicit-def: $sgpr7
	s_waitcnt lgkmcnt(0)
	s_delay_alu instid0(VALU_DEP_1) | instskip(NEXT) | instid1(VALU_DEP_2)
	v_and_b32_e32 v3, s3, v1
	v_and_b32_e32 v2, s2, v0
	s_delay_alu instid0(VALU_DEP_1)
	v_cmp_eq_u64_e64 s0, 0, v[2:3]
	v_cmpx_ne_u64_e32 0, v[2:3]
	s_cbranch_execz .LBB1_19
; %bb.18:
	v_add_co_u32 v0, vcc_lo, v0, -1
	v_add_co_ci_u32_e32 v1, vcc_lo, -1, v1, vcc_lo
	s_delay_alu instid0(VALU_DEP_4) | instskip(NEXT) | instid1(VALU_DEP_2)
	s_and_not1_b32 s0, s0, exec_lo
	v_and_b32_e32 v0, s2, v0
	s_mov_b32 s6, exec_lo
	s_delay_alu instid0(VALU_DEP_2) | instskip(SKIP_1) | instid1(VALU_DEP_2)
	v_and_b32_e32 v1, s3, v1
	s_mov_b32 s7, 0
	v_bcnt_u32_b32 v0, v0, 0
	s_delay_alu instid0(VALU_DEP_1) | instskip(NEXT) | instid1(VALU_DEP_1)
	v_bcnt_u32_b32 v0, v1, v0
	v_cmp_ne_u32_e32 vcc_lo, s41, v0
	s_and_b32 s8, vcc_lo, exec_lo
	s_delay_alu instid0(SALU_CYCLE_1)
	s_or_b32 s0, s0, s8
.LBB1_19:
	s_or_b32 exec_lo, exec_lo, s1
	v_mov_b32_e32 v0, s7
	v_mov_b32_e32 v2, v9
	s_and_saveexec_b32 s7, s0
	s_cbranch_execz .LBB1_29
; %bb.20:
	v_add_nc_u32_e32 v2, 32, v9
	s_delay_alu instid0(VALU_DEP_1) | instskip(NEXT) | instid1(VALU_DEP_1)
	v_lshlrev_b64 v[0:1], v2, 1
	v_and_b32_e32 v4, s3, v1
	s_delay_alu instid0(VALU_DEP_2) | instskip(NEXT) | instid1(VALU_DEP_1)
	v_and_b32_e32 v3, s2, v0
	v_cmp_eq_u64_e64 s1, 0, v[3:4]
	v_cmp_ne_u64_e32 vcc_lo, 0, v[3:4]
	v_add_co_u32 v3, s0, v0, -1
	s_delay_alu instid0(VALU_DEP_1)
	v_add_co_ci_u32_e64 v4, s0, -1, v1, s0
	s_and_saveexec_b32 s0, vcc_lo
	s_cbranch_execz .LBB1_24
; %bb.21:
	s_delay_alu instid0(VALU_DEP_2) | instskip(NEXT) | instid1(VALU_DEP_2)
	v_and_b32_e32 v5, s2, v3
	v_and_b32_e32 v6, s3, v4
	s_mov_b32 s8, -1
	s_mov_b32 s9, exec_lo
	s_delay_alu instid0(VALU_DEP_2) | instskip(NEXT) | instid1(VALU_DEP_1)
	v_bcnt_u32_b32 v5, v5, 0
	v_bcnt_u32_b32 v6, v6, v5
	v_mov_b32_e32 v5, 0
	s_delay_alu instid0(VALU_DEP_2)
	v_cmpx_eq_u32_e64 s41, v6
	s_cbranch_execz .LBB1_23
; %bb.22:
	s_xor_b32 s8, exec_lo, -1
	ds_store_b32 v5, v2 offset:16560
.LBB1_23:
	s_or_b32 exec_lo, exec_lo, s9
	s_delay_alu instid0(SALU_CYCLE_1) | instskip(SKIP_1) | instid1(SALU_CYCLE_1)
	s_and_not1_b32 s1, s1, exec_lo
	s_and_b32 s8, s8, exec_lo
	s_or_b32 s1, s1, s8
.LBB1_24:
	s_or_b32 exec_lo, exec_lo, s0
	s_mov_b32 s0, 0
                                        ; implicit-def: $sgpr9
	s_and_saveexec_b32 s8, s1
	s_cbranch_execz .LBB1_28
; %bb.25:
	s_load_b64 s[0:1], s[36:37], 0x10
	s_mov_b32 s11, 0
	s_mov_b32 s10, exec_lo
                                        ; implicit-def: $sgpr9
	s_waitcnt lgkmcnt(0)
	v_and_b32_e32 v1, s1, v1
	v_and_b32_e32 v0, s0, v0
	s_delay_alu instid0(VALU_DEP_1)
	v_cmpx_ne_u64_e32 0, v[0:1]
	s_xor_b32 s10, exec_lo, s10
; %bb.26:
	v_and_b32_e32 v0, s0, v3
	v_and_b32_e32 v1, s1, v4
	s_bcnt1_i32_b64 s9, s[2:3]
	s_delay_alu instid0(VALU_DEP_2) | instskip(NEXT) | instid1(VALU_DEP_1)
	v_bcnt_u32_b32 v0, v0, 0
	v_bcnt_u32_b32 v0, v1, v0
	s_delay_alu instid0(VALU_DEP_1) | instskip(NEXT) | instid1(VALU_DEP_1)
	v_add_nc_u32_e32 v0, s9, v0
	v_cmp_eq_u32_e32 vcc_lo, s41, v0
	s_and_b32 s11, vcc_lo, exec_lo
; %bb.27:
	s_or_b32 exec_lo, exec_lo, s10
	s_delay_alu instid0(SALU_CYCLE_1)
	s_and_b32 s0, s11, exec_lo
.LBB1_28:
	s_or_b32 exec_lo, exec_lo, s8
	v_mov_b32_e32 v0, s9
	s_and_not1_b32 s1, s6, exec_lo
	s_and_b32 s0, s0, exec_lo
	s_delay_alu instid0(SALU_CYCLE_1)
	s_or_b32 s6, s1, s0
.LBB1_29:
	s_or_b32 exec_lo, exec_lo, s7
	s_and_saveexec_b32 s0, s6
	s_cbranch_execz .LBB1_31
; %bb.30:
	v_dual_mov_b32 v1, 0 :: v_dual_add_nc_u32 v0, v0, v2
	ds_store_b32 v1, v0 offset:16560
.LBB1_31:
	s_or_b32 exec_lo, exec_lo, s0
.LBB1_32:
	s_delay_alu instid0(SALU_CYCLE_1)
	s_or_b32 exec_lo, exec_lo, s5
	v_cmp_eq_u32_e64 s42, 0, v9
	s_waitcnt lgkmcnt(0)
	s_barrier
	buffer_gl0_inv
	s_and_saveexec_b32 s0, s42
	s_cbranch_execz .LBB1_34
; %bb.33:
	v_mov_b32_e32 v2, 0
	ds_load_b32 v3, v2 offset:16560
	ds_load_b64 v[0:1], v2 offset:16512
	s_waitcnt lgkmcnt(1)
	v_mul_lo_u32 v4, 0x180, v3
	v_mul_hi_i32 v3, 0x180, v3
	s_waitcnt lgkmcnt(0)
	s_delay_alu instid0(VALU_DEP_2) | instskip(NEXT) | instid1(VALU_DEP_2)
	v_add_co_u32 v0, vcc_lo, v0, v4
	v_add_co_ci_u32_e32 v1, vcc_lo, v1, v3, vcc_lo
	flat_load_b64 v[0:1], v[0:1] offset:464
	ds_store_b32 v2, v2 offset:16564
	s_waitcnt vmcnt(0) lgkmcnt(1)
	ds_store_b64 v2, v[0:1] offset:17040
.LBB1_34:
	s_or_b32 exec_lo, exec_lo, s0
	s_and_b32 s44, 0xffff, s4
	s_mov_b32 s0, 0
                                        ; implicit-def: $vgpr0_vgpr1
                                        ; implicit-def: $vgpr2
	s_mov_b32 s1, exec_lo
	v_cmpx_lt_i32_e32 0, v10
	s_xor_b32 s6, exec_lo, s1
	s_cbranch_execz .LBB1_66
; %bb.35:
	s_mov_b32 s0, exec_lo
	v_cmpx_ne_u32_e32 1, v10
	s_xor_b32 s7, exec_lo, s0
	s_cbranch_execz .LBB1_70
; %bb.36:
	v_subrev_nc_u32_e32 v17, 64, v9
	v_mul_u32_u24_e32 v12, 0x810, v10
	v_mov_b32_e32 v16, 0
	s_sub_i32 s8, s44, 64
	s_add_u32 s9, s36, 48
	v_lshrrev_b16 v0, 11, v17
	s_addc_u32 s10, s37, 0
	s_mov_b32 s11, 0
	s_mov_b32 s2, s41
	s_delay_alu instid0(VALU_DEP_1) | instskip(NEXT) | instid1(VALU_DEP_1)
	v_add_nc_u16 v0, v17, v0
	v_and_b32_e32 v0, 0xffffffe0, v0
	s_delay_alu instid0(VALU_DEP_1) | instskip(NEXT) | instid1(VALU_DEP_1)
	v_sub_nc_u16 v11, v17, v0
	v_and_b32_e32 v0, 0xffff, v11
	v_add_nc_u16 v13, v11, 32
	s_delay_alu instid0(VALU_DEP_2)
	v_lshlrev_b32_e64 v14, v0, 1
	v_bfm_b32 v15, v0, 0
                                        ; implicit-def: $vgpr0_vgpr1_vgpr2_vgpr3
	s_branch .LBB1_39
.LBB1_37:                               ;   in Loop: Header=BB1_39 Depth=1
	s_or_b32 exec_lo, exec_lo, s5
	v_mov_b32_e32 v4, v17
	s_mov_b32 s5, s2
.LBB1_38:                               ;   in Loop: Header=BB1_39 Depth=1
	s_delay_alu instid0(VALU_DEP_1)
	v_mov_b32_e32 v17, v4
	s_and_b32 vcc_lo, exec_lo, s1
	s_mov_b32 s2, s5
	s_cbranch_vccnz .LBB1_70
.LBB1_39:                               ; =>This Inner Loop Header: Depth=1
	s_ashr_i32 s3, s2, 31
	s_delay_alu instid0(SALU_CYCLE_1)
	s_lshl_b64 s[0:1], s[2:3], 4
	s_mov_b32 s3, exec_lo
	s_add_u32 s4, s9, s0
	s_addc_u32 s5, s10, s1
	s_load_b64 s[0:1], s[4:5], 0x8
	s_waitcnt lgkmcnt(0)
	v_and_b32_e32 v4, s0, v14
	s_delay_alu instid0(VALU_DEP_1)
	v_cmpx_ne_u32_e32 0, v4
	s_cbranch_execz .LBB1_41
; %bb.40:                               ;   in Loop: Header=BB1_39 Depth=1
	v_and_b32_e32 v4, s0, v15
	s_delay_alu instid0(VALU_DEP_1)
	v_bcnt_u32_b32 v4, v4, v12
	ds_store_b8 v4, v11
.LBB1_41:                               ;   in Loop: Header=BB1_39 Depth=1
	s_or_b32 exec_lo, exec_lo, s3
	s_load_b64 s[4:5], s[4:5], 0x0
	v_and_b32_e32 v4, s1, v14
	s_bcnt1_i32_b32 s0, s0
	s_mov_b32 s3, exec_lo
	s_delay_alu instid0(VALU_DEP_1)
	v_cmpx_ne_u32_e32 0, v4
	s_cbranch_execz .LBB1_43
; %bb.42:                               ;   in Loop: Header=BB1_39 Depth=1
	v_and_b32_e32 v4, s1, v15
	s_delay_alu instid0(VALU_DEP_1) | instskip(NEXT) | instid1(VALU_DEP_1)
	v_bcnt_u32_b32 v4, v4, 0
	v_add3_u32 v4, v12, s0, v4
	ds_store_b8 v4, v13
.LBB1_43:                               ;   in Loop: Header=BB1_39 Depth=1
	s_or_b32 exec_lo, exec_lo, s3
	s_bcnt1_i32_b32 s12, s1
	s_waitcnt lgkmcnt(0)
	s_bfe_u32 s3, s4, 0x2000f
	s_add_i32 s12, s12, s0
	s_cmp_lt_i32 s3, 1
	s_cbranch_scc1 .LBB1_46
; %bb.44:                               ;   in Loop: Header=BB1_39 Depth=1
	s_cmp_lg_u32 s3, 1
	s_cbranch_scc0 .LBB1_47
; %bb.45:                               ;   in Loop: Header=BB1_39 Depth=1
	v_mul_u32_u24_e64 v4, s12, 20
	s_mov_b32 s1, 20
	s_movk_i32 s13, 0x140
	s_cbranch_execz .LBB1_48
	s_branch .LBB1_49
.LBB1_46:                               ;   in Loop: Header=BB1_39 Depth=1
                                        ; implicit-def: $vgpr4
                                        ; implicit-def: $sgpr13
                                        ; implicit-def: $sgpr1
	s_branch .LBB1_50
.LBB1_47:                               ;   in Loop: Header=BB1_39 Depth=1
                                        ; implicit-def: $vgpr4
                                        ; implicit-def: $sgpr13
                                        ; implicit-def: $sgpr1
.LBB1_48:                               ;   in Loop: Header=BB1_39 Depth=1
	s_lshl_b32 s0, s12, 3
	s_mov_b32 s1, 8
	v_mov_b32_e32 v4, s0
	s_movk_i32 s13, 0x80
.LBB1_49:                               ;   in Loop: Header=BB1_39 Depth=1
	s_cbranch_execnz .LBB1_51
.LBB1_50:                               ;   in Loop: Header=BB1_39 Depth=1
	s_lshl_b32 s0, s12, 2
	s_mov_b32 s13, 64
	v_mov_b32_e32 v4, s0
	s_mov_b32 s1, 4
.LBB1_51:                               ;   in Loop: Header=BB1_39 Depth=1
	v_cmp_eq_u32_e64 s0, 0, v17
	s_delay_alu instid0(VALU_DEP_1)
	s_and_saveexec_b32 s14, s0
	s_cbranch_execz .LBB1_53
; %bb.52:                               ;   in Loop: Header=BB1_39 Depth=1
	v_mov_b32_e32 v5, s13
	ds_store_b32 v16, v5 offset:17072
	s_or_b32 exec_lo, exec_lo, s14
	s_delay_alu instid0(SALU_CYCLE_1)
	s_mov_b32 s14, exec_lo
	v_cmpx_lt_i32_e64 v17, v4
	s_cbranch_execz .LBB1_61
	s_branch .LBB1_54
.LBB1_53:                               ;   in Loop: Header=BB1_39 Depth=1
	s_or_b32 exec_lo, exec_lo, s14
	s_delay_alu instid0(SALU_CYCLE_1)
	s_mov_b32 s14, exec_lo
	v_cmpx_lt_i32_e64 v17, v4
	s_cbranch_execz .LBB1_61
.LBB1_54:                               ;   in Loop: Header=BB1_39 Depth=1
	v_cvt_f32_u32_e32 v4, s1
	s_sub_i32 s15, 0, s1
	v_sub_nc_u32_e32 v6, 0, v17
	s_delay_alu instid0(VALU_DEP_2) | instskip(NEXT) | instid1(VALU_DEP_1)
	v_rcp_iflag_f32_e32 v4, v4
	v_max_i32_e32 v6, v17, v6
	s_waitcnt_depctr 0xfff
	v_mul_f32_e32 v4, 0x4f7ffffe, v4
	s_delay_alu instid0(VALU_DEP_1) | instskip(NEXT) | instid1(VALU_DEP_1)
	v_cvt_u32_f32_e32 v4, v4
	v_mul_lo_u32 v5, s15, v4
	s_delay_alu instid0(VALU_DEP_1) | instskip(NEXT) | instid1(VALU_DEP_1)
	v_mul_hi_u32 v5, v4, v5
	v_add_nc_u32_e32 v4, v4, v5
	s_delay_alu instid0(VALU_DEP_1) | instskip(NEXT) | instid1(VALU_DEP_1)
	v_mul_hi_u32 v4, v6, v4
	v_mul_lo_u32 v5, v4, s1
	s_delay_alu instid0(VALU_DEP_1) | instskip(SKIP_1) | instid1(VALU_DEP_2)
	v_sub_nc_u32_e32 v5, v6, v5
	v_add_nc_u32_e32 v6, 1, v4
	v_subrev_nc_u32_e32 v7, s1, v5
	v_cmp_le_u32_e32 vcc_lo, s1, v5
	s_delay_alu instid0(VALU_DEP_2) | instskip(SKIP_1) | instid1(VALU_DEP_2)
	v_dual_cndmask_b32 v5, v5, v7 :: v_dual_cndmask_b32 v4, v4, v6
	v_ashrrev_i32_e32 v7, 31, v17
	v_cmp_le_u32_e32 vcc_lo, s1, v5
	s_delay_alu instid0(VALU_DEP_3) | instskip(SKIP_2) | instid1(VALU_DEP_1)
	v_add_nc_u32_e32 v6, 1, v4
	ds_load_u8 v5, v16 offset:16536
	v_cndmask_b32_e32 v4, v4, v6, vcc_lo
	v_xor_b32_e32 v4, v4, v7
	s_delay_alu instid0(VALU_DEP_1) | instskip(NEXT) | instid1(VALU_DEP_1)
	v_sub_nc_u32_e32 v18, v4, v7
	v_add_nc_u32_e32 v4, v12, v18
	v_mul_lo_u32 v6, v18, s1
	ds_load_u8 v4, v4
	s_waitcnt lgkmcnt(1)
	v_cmp_ne_u16_e64 s1, 0, v5
	v_sub_nc_u32_e32 v19, v17, v6
	s_delay_alu instid0(VALU_DEP_2)
	s_and_b32 vcc_lo, exec_lo, s1
	s_cbranch_vccz .LBB1_57
; %bb.55:                               ;   in Loop: Header=BB1_39 Depth=1
	s_and_b32 vcc_lo, exec_lo, s1
	s_cbranch_vccz .LBB1_58
.LBB1_56:                               ;   in Loop: Header=BB1_39 Depth=1
	ds_load_b32 v7, v16 offset:16540
	ds_load_b64 v[5:6], v16 offset:16544
	s_waitcnt lgkmcnt(2)
	v_mul_u32_u24_e32 v4, s13, v4
	v_lshlrev_b32_e32 v8, 4, v19
	s_delay_alu instid0(VALU_DEP_1) | instskip(SKIP_1) | instid1(VALU_DEP_1)
	v_add3_u32 v4, v8, s5, v4
	s_waitcnt lgkmcnt(1)
	v_and_b32_e32 v4, v7, v4
	s_waitcnt lgkmcnt(0)
	s_delay_alu instid0(VALU_DEP_1)
	v_add_co_u32 v4, vcc_lo, v5, v4
	v_add_co_ci_u32_e32 v5, vcc_lo, 0, v6, vcc_lo
	flat_load_b128 v[4:7], v[4:5]
	s_cbranch_execz .LBB1_59
	s_branch .LBB1_60
.LBB1_57:                               ;   in Loop: Header=BB1_39 Depth=1
	s_waitcnt lgkmcnt(0)
	v_mul_u32_u24_e32 v0, s13, v4
	v_lshlrev_b32_e32 v1, 4, v19
	s_delay_alu instid0(VALU_DEP_1)
	v_add3_u32 v0, v1, s5, v0
	global_load_b128 v[0:3], v0, s[36:37]
	s_and_b32 vcc_lo, exec_lo, s1
	s_cbranch_vccnz .LBB1_56
.LBB1_58:                               ;   in Loop: Header=BB1_39 Depth=1
                                        ; implicit-def: $vgpr4_vgpr5_vgpr6_vgpr7
                                        ; implicit-def: $vgpr8
.LBB1_59:                               ;   in Loop: Header=BB1_39 Depth=1
	s_waitcnt vmcnt(0) lgkmcnt(0)
	v_dual_mov_b32 v7, v3 :: v_dual_lshlrev_b32 v8, 4, v19
	v_dual_mov_b32 v6, v2 :: v_dual_mov_b32 v5, v1
	v_mov_b32_e32 v4, v0
.LBB1_60:                               ;   in Loop: Header=BB1_39 Depth=1
	s_waitcnt vmcnt(0)
	v_add_nc_u32_e32 v0, s11, v18
	s_delay_alu instid0(VALU_DEP_1)
	v_mad_u64_u32 v[18:19], null, v0, s13, v[8:9]
	s_waitcnt lgkmcnt(0)
	v_dual_mov_b32 v0, v4 :: v_dual_mov_b32 v3, v7
	v_dual_mov_b32 v1, v5 :: v_dual_mov_b32 v2, v6
	ds_store_b128 v18, v[4:7] offset:20176
.LBB1_61:                               ;   in Loop: Header=BB1_39 Depth=1
	s_or_b32 exec_lo, exec_lo, s14
	s_bitcmp0_b32 s4, 14
	s_cselect_b32 s1, -1, 0
	s_delay_alu instid0(SALU_CYCLE_1)
	s_and_b32 vcc_lo, exec_lo, s1
	s_cbranch_vccnz .LBB1_63
; %bb.62:                               ;   in Loop: Header=BB1_39 Depth=1
	v_cmp_gt_i32_e32 vcc_lo, 64, v17
	s_and_b32 s5, s4, 0x3fff
	s_delay_alu instid0(SALU_CYCLE_1) | instskip(SKIP_1) | instid1(VALU_DEP_1)
	s_add_i32 s5, s5, s2
	v_cndmask_b32_e64 v4, 0, s8, vcc_lo
	v_add3_u32 v4, v17, v4, 0xffffffc0
	s_add_i32 s11, s12, s11
	s_cbranch_execnz .LBB1_38
	s_branch .LBB1_64
.LBB1_63:                               ;   in Loop: Header=BB1_39 Depth=1
                                        ; implicit-def: $vgpr4
                                        ; implicit-def: $sgpr5
	s_add_i32 s11, s12, s11
.LBB1_64:                               ;   in Loop: Header=BB1_39 Depth=1
	s_and_saveexec_b32 s5, s0
	s_cbranch_execz .LBB1_37
; %bb.65:                               ;   in Loop: Header=BB1_39 Depth=1
	s_and_b32 s0, s4, 0x3fff
	v_dual_mov_b32 v6, s3 :: v_dual_mov_b32 v7, s11
	s_add_i32 s12, s0, s2
	s_cmp_lg_u32 s0, 0
	v_mov_b32_e32 v17, 0
	s_cselect_b32 s0, s12, -1
	s_delay_alu instid0(SALU_CYCLE_1) | instskip(SKIP_1) | instid1(SALU_CYCLE_1)
	v_dual_mov_b32 v4, s2 :: v_dual_mov_b32 v5, s0
	s_lshr_b32 s0, s4, 17
	v_mov_b32_e32 v8, s0
	ds_store_b64 v16, v[4:5] offset:17056
	ds_store_b8 v16, v6 offset:17064
	ds_store_b32 v16, v7 offset:17068
	ds_store_b16 v16, v8 offset:17066
	s_branch .LBB1_37
.LBB1_66:
	s_and_not1_saveexec_b32 s1, s6
	s_cbranch_execz .LBB1_75
.LBB1_67:
	s_mov_b32 s3, s0
	s_mov_b32 s2, exec_lo
                                        ; implicit-def: $vgpr0_vgpr1
                                        ; implicit-def: $vgpr2
	v_cmpx_gt_u32_e32 6, v9
	s_cbranch_execz .LBB1_69
; %bb.68:
	v_mov_b32_e32 v0, 0
	v_lshlrev_b32_e32 v2, 4, v9
	s_or_b32 s3, s0, exec_lo
	ds_load_b64 v[0:1], v0 offset:16512
	s_waitcnt lgkmcnt(0)
	v_add_co_u32 v0, vcc_lo, v0, v2
	v_add_co_ci_u32_e32 v1, vcc_lo, 0, v1, vcc_lo
	v_add_nc_u32_e32 v2, 0x40c0, v2
.LBB1_69:
	s_or_b32 exec_lo, exec_lo, s2
	s_delay_alu instid0(SALU_CYCLE_1) | instskip(SKIP_1) | instid1(SALU_CYCLE_1)
	s_and_not1_b32 s0, s0, exec_lo
	s_and_b32 s2, s3, exec_lo
	s_or_b32 s0, s0, s2
	s_or_b32 exec_lo, exec_lo, s1
	s_and_saveexec_b32 s1, s0
	s_cbranch_execnz .LBB1_76
	s_branch .LBB1_77
.LBB1_70:
	s_or_saveexec_b32 s0, s7
	s_mov_b32 s1, 0
                                        ; implicit-def: $vgpr0_vgpr1
                                        ; implicit-def: $vgpr2
	s_xor_b32 exec_lo, exec_lo, s0
	s_cbranch_execz .LBB1_74
; %bb.71:
	s_mov_b32 s2, exec_lo
                                        ; implicit-def: $vgpr0_vgpr1
                                        ; implicit-def: $vgpr2
	v_cmpx_gt_u32_e32 56, v9
	s_xor_b32 s2, exec_lo, s2
	s_cbranch_execz .LBB1_73
; %bb.72:
	v_lshlrev_b32_e32 v4, 4, v9
	v_mov_b32_e32 v0, 0
	s_mov_b32 s1, exec_lo
	s_delay_alu instid0(VALU_DEP_2)
	v_add_nc_u32_e32 v5, 0xfffffe00, v4
	ds_load_b32 v2, v0 offset:16560
	ds_load_b64 v[0:1], v0 offset:16512
	s_waitcnt lgkmcnt(1)
	v_mul_lo_u32 v3, 0x180, v2
	v_mul_hi_i32 v2, 0x180, v2
	s_waitcnt lgkmcnt(0)
	s_delay_alu instid0(VALU_DEP_2) | instskip(NEXT) | instid1(VALU_DEP_2)
	v_add_co_u32 v0, vcc_lo, v0, v3
	v_add_co_ci_u32_e32 v1, vcc_lo, v1, v2, vcc_lo
	v_ashrrev_i32_e32 v2, 31, v5
	s_delay_alu instid0(VALU_DEP_3) | instskip(NEXT) | instid1(VALU_DEP_3)
	v_add_co_u32 v0, vcc_lo, 0x60, v0
	v_add_co_ci_u32_e32 v1, vcc_lo, 0, v1, vcc_lo
	s_delay_alu instid0(VALU_DEP_2) | instskip(NEXT) | instid1(VALU_DEP_2)
	v_add_co_u32 v0, vcc_lo, v0, v5
	v_add_co_ci_u32_e32 v1, vcc_lo, v1, v2, vcc_lo
	v_add_nc_u32_e32 v2, 0x3f20, v4
.LBB1_73:
	s_or_b32 exec_lo, exec_lo, s2
	s_delay_alu instid0(SALU_CYCLE_1)
	s_and_b32 s1, s1, exec_lo
.LBB1_74:
	s_or_b32 exec_lo, exec_lo, s0
	s_delay_alu instid0(SALU_CYCLE_1)
	s_and_b32 s0, s1, exec_lo
	s_and_not1_saveexec_b32 s1, s6
	s_cbranch_execnz .LBB1_67
.LBB1_75:
	s_or_b32 exec_lo, exec_lo, s1
	s_and_saveexec_b32 s1, s0
	s_cbranch_execz .LBB1_77
.LBB1_76:
	flat_load_b64 v[3:4], v[0:1]
	s_waitcnt vmcnt(0) lgkmcnt(0)
	ds_store_b64 v2, v[3:4]
	flat_load_b64 v[0:1], v[0:1] offset:8
	s_waitcnt vmcnt(0) lgkmcnt(0)
	ds_store_b64 v2, v[0:1] offset:8
.LBB1_77:
	s_or_b32 exec_lo, exec_lo, s1
	v_mov_b32_e32 v41, 0
	s_waitcnt lgkmcnt(0)
	s_barrier
	buffer_gl0_inv
	ds_load_b32 v0, v41 offset:16564
	s_waitcnt lgkmcnt(0)
	v_cmp_ne_u32_e32 vcc_lo, 0, v0
	s_cbranch_vccz .LBB1_90
.LBB1_78:
	s_and_saveexec_b32 s0, s42
	s_cbranch_execz .LBB1_89
; %bb.79:
	v_mov_b32_e32 v6, 0
	ds_load_b32 v7, v6 offset:17068
	ds_load_b64 v[2:3], v6 offset:17040
	s_waitcnt lgkmcnt(1)
	v_ashrrev_i32_e32 v5, 31, v7
	s_waitcnt lgkmcnt(0)
	v_add_co_u32 v0, vcc_lo, v2, 1
	v_add_co_ci_u32_e32 v1, vcc_lo, 0, v3, vcc_lo
	v_add_co_u32 v4, vcc_lo, v2, v7
	v_add_co_ci_u32_e32 v5, vcc_lo, v3, v5, vcc_lo
	s_delay_alu instid0(VALU_DEP_1)
	v_cmp_gt_u64_e32 vcc_lo, v[0:1], v[4:5]
	s_cbranch_vccnz .LBB1_88
; %bb.80:
	ds_load_u8 v8, v6 offset:17064
	s_movk_i32 s0, 0x4f0e
	s_movk_i32 s1, 0x4eda
	s_branch .LBB1_82
.LBB1_81:                               ;   in Loop: Header=BB1_82 Depth=1
	s_waitcnt lgkmcnt(0)
	v_ashrrev_i32_e32 v5, 31, v7
	v_add_co_u32 v0, vcc_lo, v0, 1
	v_add_co_ci_u32_e32 v1, vcc_lo, 0, v1, vcc_lo
	v_add_co_u32 v4, vcc_lo, v2, v7
	s_delay_alu instid0(VALU_DEP_4) | instskip(SKIP_2) | instid1(VALU_DEP_1)
	v_add_co_ci_u32_e32 v5, vcc_lo, v3, v5, vcc_lo
	s_add_i32 s0, s0, 64
	s_addk_i32 s1, 0x80
	v_cmp_le_u64_e32 vcc_lo, v[0:1], v[4:5]
	s_cbranch_vccz .LBB1_88
.LBB1_82:                               ; =>This Inner Loop Header: Depth=1
	s_waitcnt lgkmcnt(0)
	v_and_b32_e32 v4, 0xff, v8
	s_delay_alu instid0(VALU_DEP_1)
	v_cmp_ne_u16_e32 vcc_lo, 0, v4
	s_cbranch_vccz .LBB1_87
; %bb.83:                               ;   in Loop: Header=BB1_82 Depth=1
	v_mov_b32_e32 v4, s1
	ds_load_u8 v4, v4
	s_waitcnt lgkmcnt(0)
	v_and_b32_e32 v4, 1, v4
	s_cbranch_execnz .LBB1_85
.LBB1_84:                               ;   in Loop: Header=BB1_82 Depth=1
	v_mov_b32_e32 v4, s0
	ds_load_u16 v4, v4
	s_waitcnt lgkmcnt(0)
	v_bfe_u32 v4, v4, 6, 1
.LBB1_85:                               ;   in Loop: Header=BB1_82 Depth=1
	s_delay_alu instid0(VALU_DEP_1)
	v_cmp_eq_u32_e32 vcc_lo, 0, v4
	s_cbranch_vccnz .LBB1_81
; %bb.86:                               ;   in Loop: Header=BB1_82 Depth=1
	s_sendmsg_rtn_b64 s[2:3], sendmsg(MSG_RTN_GET_REALTIME)
	ds_load_u8 v8, v6 offset:17064
	ds_load_b32 v2, v6 offset:16560
	ds_load_b64 v[4:5], v6 offset:16664
	v_and_b32_e32 v7, 63, v0
	s_waitcnt lgkmcnt(0)
	v_ashrrev_i32_e32 v3, 31, v2
	s_delay_alu instid0(VALU_DEP_1) | instskip(NEXT) | instid1(VALU_DEP_3)
	v_lshlrev_b64 v[9:10], 10, v[2:3]
	v_dual_mov_b32 v2, s2 :: v_dual_lshlrev_b32 v7, 4, v7
	v_mov_b32_e32 v3, s3
	s_delay_alu instid0(VALU_DEP_3) | instskip(NEXT) | instid1(VALU_DEP_4)
	v_add_co_u32 v4, vcc_lo, v4, v9
	v_add_co_ci_u32_e32 v5, vcc_lo, v5, v10, vcc_lo
	s_delay_alu instid0(VALU_DEP_2) | instskip(NEXT) | instid1(VALU_DEP_2)
	v_add_co_u32 v4, vcc_lo, v4, v7
	v_add_co_ci_u32_e32 v5, vcc_lo, 0, v5, vcc_lo
	flat_store_b128 v[4:5], v[0:3]
	ds_load_b64 v[2:3], v6 offset:17040
	ds_load_b32 v7, v6 offset:17068
	s_branch .LBB1_81
.LBB1_87:                               ;   in Loop: Header=BB1_82 Depth=1
                                        ; implicit-def: $vgpr4
	s_branch .LBB1_84
.LBB1_88:
	v_mov_b32_e32 v2, 0
	ds_load_b32 v3, v2 offset:16560
	ds_load_b64 v[0:1], v2 offset:16512
	ds_store_b64 v2, v[4:5] offset:17040
	s_waitcnt lgkmcnt(2)
	v_mul_lo_u32 v6, 0x180, v3
	v_mul_hi_i32 v3, 0x180, v3
	s_waitcnt lgkmcnt(1)
	s_delay_alu instid0(VALU_DEP_2) | instskip(NEXT) | instid1(VALU_DEP_2)
	v_add_co_u32 v0, vcc_lo, v0, v6
	v_add_co_ci_u32_e32 v1, vcc_lo, v1, v3, vcc_lo
	flat_store_b64 v[0:1], v[4:5] offset:464
.LBB1_89:
	s_endpgm
.LBB1_90:
	v_and_b32_e32 v43, 31, v9
	v_cmp_eq_u32_e32 vcc_lo, 1, v10
	v_cmp_gt_u32_e64 s0, 40, v9
	s_movk_i32 s1, 0x160
	v_cmp_eq_u32_e64 s43, 32, v9
	v_mad_u32_u24 v44, v9, s1, 0x17d8
	v_mul_u32_u24_e32 v45, 0x810, v10
	v_lshlrev_b32_e64 v46, v9, 1
	v_bfm_b32 v47, v43, 0
	v_or_b32_e32 v56, 32, v43
	s_and_b32 s45, s0, vcc_lo
	s_add_u32 s46, s36, 48
	s_addc_u32 s47, s37, 0
	s_branch .LBB1_92
.LBB1_91:                               ;   in Loop: Header=BB1_92 Depth=1
	s_waitcnt lgkmcnt(0)
	s_waitcnt_vscnt null, 0x0
	s_barrier
	buffer_gl0_inv
	ds_load_b32 v0, v41 offset:16564
	s_waitcnt lgkmcnt(0)
	v_cmp_ne_u32_e64 s0, 0, v0
	s_delay_alu instid0(VALU_DEP_1)
	s_and_b32 vcc_lo, exec_lo, s0
	s_cbranch_vccnz .LBB1_78
.LBB1_92:                               ; =>This Loop Header: Depth=1
                                        ;     Child Loop BB1_96 Depth 2
                                        ;     Child Loop BB1_587 Depth 2
	;; [unrolled: 1-line block ×3, first 2 shown]
	s_and_saveexec_b32 s0, s42
	s_cbranch_execz .LBB1_102
; %bb.93:                               ;   in Loop: Header=BB1_92 Depth=1
	ds_load_b32 v4, v41 offset:17068
	ds_load_b64 v[2:3], v41 offset:17040
	s_waitcnt lgkmcnt(1)
	v_ashrrev_i32_e32 v6, 31, v4
	s_waitcnt lgkmcnt(0)
	v_add_co_u32 v0, vcc_lo, v2, 1
	v_add_co_ci_u32_e32 v1, vcc_lo, 0, v3, vcc_lo
	v_add_co_u32 v5, vcc_lo, v2, v4
	v_add_co_ci_u32_e32 v6, vcc_lo, v3, v6, vcc_lo
	s_delay_alu instid0(VALU_DEP_1)
	v_cmp_gt_u64_e32 vcc_lo, v[0:1], v[5:6]
	s_cbranch_vccnz .LBB1_102
; %bb.94:                               ;   in Loop: Header=BB1_92 Depth=1
	ds_load_u8 v5, v41 offset:17064
	s_movk_i32 s1, 0x4f0e
	s_movk_i32 s2, 0x4eda
	s_branch .LBB1_96
.LBB1_95:                               ;   in Loop: Header=BB1_96 Depth=2
	s_waitcnt lgkmcnt(0)
	v_ashrrev_i32_e32 v7, 31, v4
	v_add_co_u32 v0, vcc_lo, v0, 1
	v_add_co_ci_u32_e32 v1, vcc_lo, 0, v1, vcc_lo
	v_add_co_u32 v6, vcc_lo, v2, v4
	s_delay_alu instid0(VALU_DEP_4) | instskip(SKIP_2) | instid1(VALU_DEP_1)
	v_add_co_ci_u32_e32 v7, vcc_lo, v3, v7, vcc_lo
	s_add_i32 s1, s1, 64
	s_addk_i32 s2, 0x80
	v_cmp_le_u64_e32 vcc_lo, v[0:1], v[6:7]
	s_cbranch_vccz .LBB1_102
.LBB1_96:                               ;   Parent Loop BB1_92 Depth=1
                                        ; =>  This Inner Loop Header: Depth=2
	s_waitcnt lgkmcnt(0)
	v_and_b32_e32 v6, 0xff, v5
	s_delay_alu instid0(VALU_DEP_1)
	v_cmp_ne_u16_e32 vcc_lo, 0, v6
	s_cbranch_vccz .LBB1_101
; %bb.97:                               ;   in Loop: Header=BB1_96 Depth=2
	v_mov_b32_e32 v6, s2
	ds_load_u8 v6, v6
	s_waitcnt lgkmcnt(0)
	v_and_b32_e32 v6, 1, v6
	s_cbranch_execnz .LBB1_99
.LBB1_98:                               ;   in Loop: Header=BB1_96 Depth=2
	v_mov_b32_e32 v6, s1
	ds_load_u16 v6, v6
	s_waitcnt lgkmcnt(0)
	v_bfe_u32 v6, v6, 6, 1
.LBB1_99:                               ;   in Loop: Header=BB1_96 Depth=2
	s_delay_alu instid0(VALU_DEP_1)
	v_cmp_eq_u32_e32 vcc_lo, 0, v6
	s_cbranch_vccnz .LBB1_95
; %bb.100:                              ;   in Loop: Header=BB1_96 Depth=2
	s_sendmsg_rtn_b64 s[4:5], sendmsg(MSG_RTN_GET_REALTIME)
	ds_load_u8 v5, v41 offset:17064
	ds_load_b32 v2, v41 offset:16560
	ds_load_b64 v[6:7], v41 offset:16656
	v_and_b32_e32 v8, 63, v0
	s_waitcnt lgkmcnt(0)
	v_ashrrev_i32_e32 v3, 31, v2
	s_delay_alu instid0(VALU_DEP_1) | instskip(SKIP_1) | instid1(VALU_DEP_2)
	v_lshlrev_b64 v[3:4], 10, v[2:3]
	v_mov_b32_e32 v2, s4
	v_add_co_u32 v6, vcc_lo, v6, v3
	v_dual_mov_b32 v3, s5 :: v_dual_lshlrev_b32 v8, 4, v8
	s_delay_alu instid0(VALU_DEP_4) | instskip(NEXT) | instid1(VALU_DEP_2)
	v_add_co_ci_u32_e32 v4, vcc_lo, v7, v4, vcc_lo
	v_add_co_u32 v6, vcc_lo, v6, v8
	s_delay_alu instid0(VALU_DEP_2)
	v_add_co_ci_u32_e32 v7, vcc_lo, 0, v4, vcc_lo
	flat_store_b128 v[6:7], v[0:3]
	ds_load_b64 v[2:3], v41 offset:17040
	ds_load_b32 v4, v41 offset:17068
	s_branch .LBB1_95
.LBB1_101:                              ;   in Loop: Header=BB1_96 Depth=2
                                        ; implicit-def: $vgpr6
	s_branch .LBB1_98
.LBB1_102:                              ;   in Loop: Header=BB1_92 Depth=1
	s_or_b32 exec_lo, exec_lo, s0
	ds_load_u16 v0, v41 offset:17066
	s_mov_b32 s0, -1
	s_waitcnt lgkmcnt(0)
	v_cmp_lt_u32_e32 vcc_lo, 0x58, v0
	v_readfirstlane_b32 s48, v0
	s_cbranch_vccz .LBB1_267
; %bb.103:                              ;   in Loop: Header=BB1_92 Depth=1
	s_delay_alu instid0(VALU_DEP_1)
	s_cmpk_gt_u32 s48, 0x85
	s_cbranch_scc0 .LBB1_182
; %bb.104:                              ;   in Loop: Header=BB1_92 Depth=1
	s_cmpk_gt_u32 s48, 0x9b
	s_cbranch_scc0 .LBB1_144
; %bb.105:                              ;   in Loop: Header=BB1_92 Depth=1
	;; [unrolled: 3-line block ×6, first 2 shown]
	v_mov_b32_e32 v31, v40
	s_add_u32 s8, s36, 0x1000
	s_addc_u32 s9, s37, 0
	s_mov_b64 s[4:5], s[38:39]
	s_mov_b64 s[10:11], s[34:35]
	s_mov_b32 s12, s41
	s_mov_b32 s13, s40
	;; [unrolled: 1-line block ×3, first 2 shown]
	s_getpc_b64 s[0:1]
	s_add_u32 s0, s0, _Z50ncclDevFunc_AlltoAllPivot_RING_SIMPLE_Sum_i8_0_0_2v@rel32@lo+4
	s_addc_u32 s1, s1, _Z50ncclDevFunc_AlltoAllPivot_RING_SIMPLE_Sum_i8_0_0_2v@rel32@hi+12
	s_delay_alu instid0(SALU_CYCLE_1)
	s_swappc_b64 s[30:31], s[0:1]
	s_mov_b32 s0, 0
.LBB1_110:                              ;   in Loop: Header=BB1_92 Depth=1
	s_delay_alu instid0(SALU_CYCLE_1)
	s_and_not1_b32 vcc_lo, exec_lo, s0
	s_cbranch_vccnz .LBB1_112
; %bb.111:                              ;   in Loop: Header=BB1_92 Depth=1
	v_mov_b32_e32 v31, v40
	s_add_u32 s8, s36, 0x1000
	s_addc_u32 s9, s37, 0
	s_mov_b64 s[4:5], s[38:39]
	s_mov_b64 s[10:11], s[34:35]
	s_mov_b32 s12, s41
	s_mov_b32 s13, s40
	;; [unrolled: 1-line block ×3, first 2 shown]
	s_getpc_b64 s[0:1]
	s_add_u32 s0, s0, _Z45ncclDevFunc_SendRecv_RING_SIMPLE_Sum_i8_0_0_2v@rel32@lo+4
	s_addc_u32 s1, s1, _Z45ncclDevFunc_SendRecv_RING_SIMPLE_Sum_i8_0_0_2v@rel32@hi+12
	s_delay_alu instid0(SALU_CYCLE_1)
	s_swappc_b64 s[30:31], s[0:1]
.LBB1_112:                              ;   in Loop: Header=BB1_92 Depth=1
	s_mov_b32 s0, 0
.LBB1_113:                              ;   in Loop: Header=BB1_92 Depth=1
	s_delay_alu instid0(SALU_CYCLE_1)
	s_and_not1_b32 vcc_lo, exec_lo, s0
	s_cbranch_vccnz .LBB1_118
; %bb.114:                              ;   in Loop: Header=BB1_92 Depth=1
	s_cmpk_lg_i32 s48, 0xad
	s_mov_b32 s0, -1
	s_cbranch_scc0 .LBB1_116
; %bb.115:                              ;   in Loop: Header=BB1_92 Depth=1
	v_mov_b32_e32 v31, v40
	s_add_u32 s8, s36, 0x1000
	s_addc_u32 s9, s37, 0
	s_mov_b64 s[4:5], s[38:39]
	s_mov_b64 s[10:11], s[34:35]
	s_mov_b32 s12, s41
	s_mov_b32 s13, s40
	s_mov_b32 s14, s33
	s_getpc_b64 s[0:1]
	s_add_u32 s0, s0, _Z54ncclDevFunc_AllReduce_RING_SIMPLE_SumPostDiv_u64_0_0_2v@rel32@lo+4
	s_addc_u32 s1, s1, _Z54ncclDevFunc_AllReduce_RING_SIMPLE_SumPostDiv_u64_0_0_2v@rel32@hi+12
	s_delay_alu instid0(SALU_CYCLE_1)
	s_swappc_b64 s[30:31], s[0:1]
	s_mov_b32 s0, 0
.LBB1_116:                              ;   in Loop: Header=BB1_92 Depth=1
	s_delay_alu instid0(SALU_CYCLE_1)
	s_and_not1_b32 vcc_lo, exec_lo, s0
	s_cbranch_vccnz .LBB1_118
; %bb.117:                              ;   in Loop: Header=BB1_92 Depth=1
	v_mov_b32_e32 v31, v40
	s_add_u32 s8, s36, 0x1000
	s_addc_u32 s9, s37, 0
	s_mov_b64 s[4:5], s[38:39]
	s_mov_b64 s[10:11], s[34:35]
	s_mov_b32 s12, s41
	s_mov_b32 s13, s40
	;; [unrolled: 1-line block ×3, first 2 shown]
	s_getpc_b64 s[0:1]
	s_add_u32 s0, s0, _Z54ncclDevFunc_AllReduce_RING_SIMPLE_SumPostDiv_u32_0_0_2v@rel32@lo+4
	s_addc_u32 s1, s1, _Z54ncclDevFunc_AllReduce_RING_SIMPLE_SumPostDiv_u32_0_0_2v@rel32@hi+12
	s_delay_alu instid0(SALU_CYCLE_1)
	s_swappc_b64 s[30:31], s[0:1]
.LBB1_118:                              ;   in Loop: Header=BB1_92 Depth=1
	s_mov_b32 s0, 0
.LBB1_119:                              ;   in Loop: Header=BB1_92 Depth=1
	s_delay_alu instid0(SALU_CYCLE_1)
	s_and_not1_b32 vcc_lo, exec_lo, s0
	s_cbranch_vccnz .LBB1_127
; %bb.120:                              ;   in Loop: Header=BB1_92 Depth=1
	s_cmpk_gt_u32 s48, 0xa9
	s_mov_b32 s0, -1
	s_cbranch_scc0 .LBB1_122
; %bb.121:                              ;   in Loop: Header=BB1_92 Depth=1
	v_mov_b32_e32 v31, v40
	s_add_u32 s8, s36, 0x1000
	s_addc_u32 s9, s37, 0
	s_mov_b64 s[4:5], s[38:39]
	s_mov_b64 s[10:11], s[34:35]
	s_mov_b32 s12, s41
	s_mov_b32 s13, s40
	;; [unrolled: 1-line block ×3, first 2 shown]
	s_getpc_b64 s[0:1]
	s_add_u32 s0, s0, _Z53ncclDevFunc_AllReduce_RING_SIMPLE_SumPostDiv_u8_0_0_2v@rel32@lo+4
	s_addc_u32 s1, s1, _Z53ncclDevFunc_AllReduce_RING_SIMPLE_SumPostDiv_u8_0_0_2v@rel32@hi+12
	s_delay_alu instid0(SALU_CYCLE_1)
	s_swappc_b64 s[30:31], s[0:1]
	s_mov_b32 s0, 0
.LBB1_122:                              ;   in Loop: Header=BB1_92 Depth=1
	s_delay_alu instid0(SALU_CYCLE_1)
	s_and_not1_b32 vcc_lo, exec_lo, s0
	s_cbranch_vccnz .LBB1_127
; %bb.123:                              ;   in Loop: Header=BB1_92 Depth=1
	s_cmpk_lg_i32 s48, 0xa7
	s_mov_b32 s0, -1
	s_cbranch_scc0 .LBB1_125
; %bb.124:                              ;   in Loop: Header=BB1_92 Depth=1
	v_mov_b32_e32 v31, v40
	s_add_u32 s8, s36, 0x1000
	s_addc_u32 s9, s37, 0
	s_mov_b64 s[4:5], s[38:39]
	s_mov_b64 s[10:11], s[34:35]
	s_mov_b32 s12, s41
	s_mov_b32 s13, s40
	;; [unrolled: 1-line block ×3, first 2 shown]
	s_getpc_b64 s[0:1]
	s_add_u32 s0, s0, _Z56ncclDevFunc_AllReduce_RING_SIMPLE_PreMulSum_f8e5m2_0_0_2v@rel32@lo+4
	s_addc_u32 s1, s1, _Z56ncclDevFunc_AllReduce_RING_SIMPLE_PreMulSum_f8e5m2_0_0_2v@rel32@hi+12
	s_delay_alu instid0(SALU_CYCLE_1)
	s_swappc_b64 s[30:31], s[0:1]
	s_mov_b32 s0, 0
.LBB1_125:                              ;   in Loop: Header=BB1_92 Depth=1
	s_delay_alu instid0(SALU_CYCLE_1)
	s_and_not1_b32 vcc_lo, exec_lo, s0
	s_cbranch_vccnz .LBB1_127
; %bb.126:                              ;   in Loop: Header=BB1_92 Depth=1
	v_mov_b32_e32 v31, v40
	s_add_u32 s8, s36, 0x1000
	s_addc_u32 s9, s37, 0
	s_mov_b64 s[4:5], s[38:39]
	s_mov_b64 s[10:11], s[34:35]
	s_mov_b32 s12, s41
	s_mov_b32 s13, s40
	;; [unrolled: 1-line block ×3, first 2 shown]
	s_getpc_b64 s[0:1]
	s_add_u32 s0, s0, _Z56ncclDevFunc_AllReduce_RING_SIMPLE_PreMulSum_f8e4m3_0_0_2v@rel32@lo+4
	s_addc_u32 s1, s1, _Z56ncclDevFunc_AllReduce_RING_SIMPLE_PreMulSum_f8e4m3_0_0_2v@rel32@hi+12
	s_delay_alu instid0(SALU_CYCLE_1)
	s_swappc_b64 s[30:31], s[0:1]
.LBB1_127:                              ;   in Loop: Header=BB1_92 Depth=1
	s_mov_b32 s0, 0
.LBB1_128:                              ;   in Loop: Header=BB1_92 Depth=1
	s_delay_alu instid0(SALU_CYCLE_1)
	s_and_not1_b32 vcc_lo, exec_lo, s0
	s_cbranch_vccnz .LBB1_143
; %bb.129:                              ;   in Loop: Header=BB1_92 Depth=1
	s_cmpk_gt_u32 s48, 0xa0
	s_mov_b32 s0, -1
	s_cbranch_scc0 .LBB1_138
; %bb.130:                              ;   in Loop: Header=BB1_92 Depth=1
	s_cmpk_gt_u32 s48, 0xa3
	s_cbranch_scc0 .LBB1_132
; %bb.131:                              ;   in Loop: Header=BB1_92 Depth=1
	v_mov_b32_e32 v31, v40
	s_add_u32 s8, s36, 0x1000
	s_addc_u32 s9, s37, 0
	s_mov_b64 s[4:5], s[38:39]
	s_mov_b64 s[10:11], s[34:35]
	s_mov_b32 s12, s41
	s_mov_b32 s13, s40
	;; [unrolled: 1-line block ×3, first 2 shown]
	s_getpc_b64 s[0:1]
	s_add_u32 s0, s0, _Z54ncclDevFunc_AllReduce_RING_SIMPLE_PreMulSum_bf16_0_1_2v@rel32@lo+4
	s_addc_u32 s1, s1, _Z54ncclDevFunc_AllReduce_RING_SIMPLE_PreMulSum_bf16_0_1_2v@rel32@hi+12
	s_delay_alu instid0(SALU_CYCLE_1)
	s_swappc_b64 s[30:31], s[0:1]
	s_mov_b32 s0, 0
.LBB1_132:                              ;   in Loop: Header=BB1_92 Depth=1
	s_delay_alu instid0(SALU_CYCLE_1)
	s_and_not1_b32 vcc_lo, exec_lo, s0
	s_cbranch_vccnz .LBB1_137
; %bb.133:                              ;   in Loop: Header=BB1_92 Depth=1
	s_cmpk_lg_i32 s48, 0xa1
	s_mov_b32 s0, -1
	s_cbranch_scc0 .LBB1_135
; %bb.134:                              ;   in Loop: Header=BB1_92 Depth=1
	v_mov_b32_e32 v31, v40
	s_add_u32 s8, s36, 0x1000
	s_addc_u32 s9, s37, 0
	s_mov_b64 s[4:5], s[38:39]
	s_mov_b64 s[10:11], s[34:35]
	s_mov_b32 s12, s41
	s_mov_b32 s13, s40
	;; [unrolled: 1-line block ×3, first 2 shown]
	s_getpc_b64 s[0:1]
	s_add_u32 s0, s0, _Z54ncclDevFunc_AllReduce_RING_SIMPLE_PreMulSum_bf16_0_0_2v@rel32@lo+4
	s_addc_u32 s1, s1, _Z54ncclDevFunc_AllReduce_RING_SIMPLE_PreMulSum_bf16_0_0_2v@rel32@hi+12
	s_delay_alu instid0(SALU_CYCLE_1)
	s_swappc_b64 s[30:31], s[0:1]
	s_mov_b32 s0, 0
.LBB1_135:                              ;   in Loop: Header=BB1_92 Depth=1
	s_delay_alu instid0(SALU_CYCLE_1)
	s_and_not1_b32 vcc_lo, exec_lo, s0
	s_cbranch_vccnz .LBB1_137
; %bb.136:                              ;   in Loop: Header=BB1_92 Depth=1
	v_mov_b32_e32 v31, v40
	s_add_u32 s8, s36, 0x1000
	s_addc_u32 s9, s37, 0
	s_mov_b64 s[4:5], s[38:39]
	s_mov_b64 s[10:11], s[34:35]
	s_mov_b32 s12, s41
	s_mov_b32 s13, s40
	s_mov_b32 s14, s33
	s_getpc_b64 s[0:1]
	s_add_u32 s0, s0, _Z53ncclDevFunc_AllReduce_RING_SIMPLE_PreMulSum_f64_0_0_2v@rel32@lo+4
	s_addc_u32 s1, s1, _Z53ncclDevFunc_AllReduce_RING_SIMPLE_PreMulSum_f64_0_0_2v@rel32@hi+12
	s_delay_alu instid0(SALU_CYCLE_1)
	s_swappc_b64 s[30:31], s[0:1]
.LBB1_137:                              ;   in Loop: Header=BB1_92 Depth=1
	s_mov_b32 s0, 0
.LBB1_138:                              ;   in Loop: Header=BB1_92 Depth=1
	s_delay_alu instid0(SALU_CYCLE_1)
	s_and_not1_b32 vcc_lo, exec_lo, s0
	s_cbranch_vccnz .LBB1_143
; %bb.139:                              ;   in Loop: Header=BB1_92 Depth=1
	s_cmpk_gt_u32 s48, 0x9d
	s_mov_b32 s0, -1
	s_cbranch_scc0 .LBB1_141
; %bb.140:                              ;   in Loop: Header=BB1_92 Depth=1
	v_mov_b32_e32 v31, v40
	s_add_u32 s8, s36, 0x1000
	s_addc_u32 s9, s37, 0
	s_mov_b64 s[4:5], s[38:39]
	s_mov_b64 s[10:11], s[34:35]
	s_mov_b32 s12, s41
	s_mov_b32 s13, s40
	;; [unrolled: 1-line block ×3, first 2 shown]
	s_getpc_b64 s[0:1]
	s_add_u32 s0, s0, _Z53ncclDevFunc_AllReduce_RING_SIMPLE_PreMulSum_f32_0_0_2v@rel32@lo+4
	s_addc_u32 s1, s1, _Z53ncclDevFunc_AllReduce_RING_SIMPLE_PreMulSum_f32_0_0_2v@rel32@hi+12
	s_delay_alu instid0(SALU_CYCLE_1)
	s_swappc_b64 s[30:31], s[0:1]
	s_mov_b32 s0, 0
.LBB1_141:                              ;   in Loop: Header=BB1_92 Depth=1
	s_delay_alu instid0(SALU_CYCLE_1)
	s_and_not1_b32 vcc_lo, exec_lo, s0
	s_cbranch_vccnz .LBB1_143
; %bb.142:                              ;   in Loop: Header=BB1_92 Depth=1
	v_mov_b32_e32 v31, v40
	s_add_u32 s8, s36, 0x1000
	s_addc_u32 s9, s37, 0
	s_mov_b64 s[4:5], s[38:39]
	s_mov_b64 s[10:11], s[34:35]
	s_mov_b32 s12, s41
	s_mov_b32 s13, s40
	s_mov_b32 s14, s33
	s_getpc_b64 s[0:1]
	s_add_u32 s0, s0, _Z53ncclDevFunc_AllReduce_RING_SIMPLE_PreMulSum_f16_0_0_2v@rel32@lo+4
	s_addc_u32 s1, s1, _Z53ncclDevFunc_AllReduce_RING_SIMPLE_PreMulSum_f16_0_0_2v@rel32@hi+12
	s_delay_alu instid0(SALU_CYCLE_1)
	s_swappc_b64 s[30:31], s[0:1]
.LBB1_143:                              ;   in Loop: Header=BB1_92 Depth=1
	s_mov_b32 s0, 0
.LBB1_144:                              ;   in Loop: Header=BB1_92 Depth=1
	s_delay_alu instid0(SALU_CYCLE_1)
	s_and_not1_b32 vcc_lo, exec_lo, s0
	s_cbranch_vccnz .LBB1_181
; %bb.145:                              ;   in Loop: Header=BB1_92 Depth=1
	s_cmpk_gt_u32 s48, 0x90
	s_mov_b32 s0, -1
	s_cbranch_scc0 .LBB1_162
; %bb.146:                              ;   in Loop: Header=BB1_92 Depth=1
	s_cmpk_gt_u32 s48, 0x95
	s_cbranch_scc0 .LBB1_156
; %bb.147:                              ;   in Loop: Header=BB1_92 Depth=1
	s_cmpk_gt_u32 s48, 0x98
	s_cbranch_scc0 .LBB1_153
; %bb.148:                              ;   in Loop: Header=BB1_92 Depth=1
	s_cmpk_lg_i32 s48, 0x99
	s_cbranch_scc0 .LBB1_150
; %bb.149:                              ;   in Loop: Header=BB1_92 Depth=1
	v_mov_b32_e32 v31, v40
	s_add_u32 s8, s36, 0x1000
	s_addc_u32 s9, s37, 0
	s_mov_b64 s[4:5], s[38:39]
	s_mov_b64 s[10:11], s[34:35]
	s_mov_b32 s12, s41
	s_mov_b32 s13, s40
	;; [unrolled: 1-line block ×3, first 2 shown]
	s_getpc_b64 s[0:1]
	s_add_u32 s0, s0, _Z53ncclDevFunc_AllReduce_RING_SIMPLE_PreMulSum_u64_0_0_2v@rel32@lo+4
	s_addc_u32 s1, s1, _Z53ncclDevFunc_AllReduce_RING_SIMPLE_PreMulSum_u64_0_0_2v@rel32@hi+12
	s_delay_alu instid0(SALU_CYCLE_1)
	s_swappc_b64 s[30:31], s[0:1]
	s_mov_b32 s0, 0
.LBB1_150:                              ;   in Loop: Header=BB1_92 Depth=1
	s_delay_alu instid0(SALU_CYCLE_1)
	s_and_not1_b32 vcc_lo, exec_lo, s0
	s_cbranch_vccnz .LBB1_152
; %bb.151:                              ;   in Loop: Header=BB1_92 Depth=1
	v_mov_b32_e32 v31, v40
	s_add_u32 s8, s36, 0x1000
	s_addc_u32 s9, s37, 0
	s_mov_b64 s[4:5], s[38:39]
	s_mov_b64 s[10:11], s[34:35]
	s_mov_b32 s12, s41
	s_mov_b32 s13, s40
	;; [unrolled: 1-line block ×3, first 2 shown]
	s_getpc_b64 s[0:1]
	s_add_u32 s0, s0, _Z53ncclDevFunc_AllReduce_RING_SIMPLE_PreMulSum_u32_0_0_2v@rel32@lo+4
	s_addc_u32 s1, s1, _Z53ncclDevFunc_AllReduce_RING_SIMPLE_PreMulSum_u32_0_0_2v@rel32@hi+12
	s_delay_alu instid0(SALU_CYCLE_1)
	s_swappc_b64 s[30:31], s[0:1]
.LBB1_152:                              ;   in Loop: Header=BB1_92 Depth=1
	s_mov_b32 s0, 0
.LBB1_153:                              ;   in Loop: Header=BB1_92 Depth=1
	s_delay_alu instid0(SALU_CYCLE_1)
	s_and_not1_b32 vcc_lo, exec_lo, s0
	s_cbranch_vccnz .LBB1_155
; %bb.154:                              ;   in Loop: Header=BB1_92 Depth=1
	v_mov_b32_e32 v31, v40
	s_add_u32 s8, s36, 0x1000
	s_addc_u32 s9, s37, 0
	s_mov_b64 s[4:5], s[38:39]
	s_mov_b64 s[10:11], s[34:35]
	s_mov_b32 s12, s41
	s_mov_b32 s13, s40
	;; [unrolled: 1-line block ×3, first 2 shown]
	s_getpc_b64 s[0:1]
	s_add_u32 s0, s0, _Z52ncclDevFunc_AllReduce_RING_SIMPLE_PreMulSum_u8_0_0_2v@rel32@lo+4
	s_addc_u32 s1, s1, _Z52ncclDevFunc_AllReduce_RING_SIMPLE_PreMulSum_u8_0_0_2v@rel32@hi+12
	s_delay_alu instid0(SALU_CYCLE_1)
	s_swappc_b64 s[30:31], s[0:1]
.LBB1_155:                              ;   in Loop: Header=BB1_92 Depth=1
	s_mov_b32 s0, 0
.LBB1_156:                              ;   in Loop: Header=BB1_92 Depth=1
	s_delay_alu instid0(SALU_CYCLE_1)
	s_and_not1_b32 vcc_lo, exec_lo, s0
	s_cbranch_vccnz .LBB1_161
; %bb.157:                              ;   in Loop: Header=BB1_92 Depth=1
	s_cmpk_gt_u32 s48, 0x93
	s_mov_b32 s0, -1
	s_cbranch_scc0 .LBB1_159
; %bb.158:                              ;   in Loop: Header=BB1_92 Depth=1
	v_mov_b32_e32 v31, v40
	s_add_u32 s8, s36, 0x1000
	s_addc_u32 s9, s37, 0
	s_mov_b64 s[4:5], s[38:39]
	s_mov_b64 s[10:11], s[34:35]
	s_mov_b32 s12, s41
	s_mov_b32 s13, s40
	;; [unrolled: 1-line block ×3, first 2 shown]
	s_getpc_b64 s[0:1]
	s_add_u32 s0, s0, _Z53ncclDevFunc_AllReduce_RING_SIMPLE_MinMax_f8e5m2_0_0_2v@rel32@lo+4
	s_addc_u32 s1, s1, _Z53ncclDevFunc_AllReduce_RING_SIMPLE_MinMax_f8e5m2_0_0_2v@rel32@hi+12
	s_delay_alu instid0(SALU_CYCLE_1)
	s_swappc_b64 s[30:31], s[0:1]
	s_mov_b32 s0, 0
.LBB1_159:                              ;   in Loop: Header=BB1_92 Depth=1
	s_delay_alu instid0(SALU_CYCLE_1)
	s_and_not1_b32 vcc_lo, exec_lo, s0
	s_cbranch_vccnz .LBB1_161
; %bb.160:                              ;   in Loop: Header=BB1_92 Depth=1
	v_mov_b32_e32 v31, v40
	s_add_u32 s8, s36, 0x1000
	s_addc_u32 s9, s37, 0
	s_mov_b64 s[4:5], s[38:39]
	s_mov_b64 s[10:11], s[34:35]
	s_mov_b32 s12, s41
	s_mov_b32 s13, s40
	;; [unrolled: 1-line block ×3, first 2 shown]
	s_getpc_b64 s[0:1]
	s_add_u32 s0, s0, _Z53ncclDevFunc_AllReduce_RING_SIMPLE_MinMax_f8e4m3_0_0_2v@rel32@lo+4
	s_addc_u32 s1, s1, _Z53ncclDevFunc_AllReduce_RING_SIMPLE_MinMax_f8e4m3_0_0_2v@rel32@hi+12
	s_delay_alu instid0(SALU_CYCLE_1)
	s_swappc_b64 s[30:31], s[0:1]
.LBB1_161:                              ;   in Loop: Header=BB1_92 Depth=1
	s_mov_b32 s0, 0
.LBB1_162:                              ;   in Loop: Header=BB1_92 Depth=1
	s_delay_alu instid0(SALU_CYCLE_1)
	s_and_not1_b32 vcc_lo, exec_lo, s0
	s_cbranch_vccnz .LBB1_181
; %bb.163:                              ;   in Loop: Header=BB1_92 Depth=1
	s_cmpk_gt_u32 s48, 0x8a
	s_mov_b32 s0, -1
	s_cbranch_scc0 .LBB1_176
; %bb.164:                              ;   in Loop: Header=BB1_92 Depth=1
	s_cmpk_gt_u32 s48, 0x8d
	s_cbranch_scc0 .LBB1_170
; %bb.165:                              ;   in Loop: Header=BB1_92 Depth=1
	s_cmpk_eq_i32 s48, 0x90
	s_cbranch_scc1 .LBB1_167
; %bb.166:                              ;   in Loop: Header=BB1_92 Depth=1
	v_mov_b32_e32 v31, v40
	s_add_u32 s8, s36, 0x1000
	s_addc_u32 s9, s37, 0
	s_mov_b64 s[4:5], s[38:39]
	s_mov_b64 s[10:11], s[34:35]
	s_mov_b32 s12, s41
	s_mov_b32 s13, s40
	;; [unrolled: 1-line block ×3, first 2 shown]
	s_getpc_b64 s[0:1]
	s_add_u32 s0, s0, _Z51ncclDevFunc_AllReduce_RING_SIMPLE_MinMax_bf16_0_0_2v@rel32@lo+4
	s_addc_u32 s1, s1, _Z51ncclDevFunc_AllReduce_RING_SIMPLE_MinMax_bf16_0_0_2v@rel32@hi+12
	s_delay_alu instid0(SALU_CYCLE_1)
	s_swappc_b64 s[30:31], s[0:1]
	s_mov_b32 s0, 0
.LBB1_167:                              ;   in Loop: Header=BB1_92 Depth=1
	s_delay_alu instid0(SALU_CYCLE_1)
	s_and_not1_b32 vcc_lo, exec_lo, s0
	s_cbranch_vccnz .LBB1_169
; %bb.168:                              ;   in Loop: Header=BB1_92 Depth=1
	v_mov_b32_e32 v31, v40
	s_add_u32 s8, s36, 0x1000
	s_addc_u32 s9, s37, 0
	s_mov_b64 s[4:5], s[38:39]
	s_mov_b64 s[10:11], s[34:35]
	s_mov_b32 s12, s41
	s_mov_b32 s13, s40
	;; [unrolled: 1-line block ×3, first 2 shown]
	s_getpc_b64 s[0:1]
	s_add_u32 s0, s0, _Z51ncclDevFunc_AllReduce_RING_SIMPLE_MinMax_bf16_0_1_2v@rel32@lo+4
	s_addc_u32 s1, s1, _Z51ncclDevFunc_AllReduce_RING_SIMPLE_MinMax_bf16_0_1_2v@rel32@hi+12
	s_delay_alu instid0(SALU_CYCLE_1)
	s_swappc_b64 s[30:31], s[0:1]
.LBB1_169:                              ;   in Loop: Header=BB1_92 Depth=1
	s_mov_b32 s0, 0
.LBB1_170:                              ;   in Loop: Header=BB1_92 Depth=1
	s_delay_alu instid0(SALU_CYCLE_1)
	s_and_not1_b32 vcc_lo, exec_lo, s0
	s_cbranch_vccnz .LBB1_175
; %bb.171:                              ;   in Loop: Header=BB1_92 Depth=1
	s_cmpk_lg_i32 s48, 0x8b
	s_mov_b32 s0, -1
	s_cbranch_scc0 .LBB1_173
; %bb.172:                              ;   in Loop: Header=BB1_92 Depth=1
	v_mov_b32_e32 v31, v40
	s_add_u32 s8, s36, 0x1000
	s_addc_u32 s9, s37, 0
	s_mov_b64 s[4:5], s[38:39]
	s_mov_b64 s[10:11], s[34:35]
	s_mov_b32 s12, s41
	s_mov_b32 s13, s40
	;; [unrolled: 1-line block ×3, first 2 shown]
	s_getpc_b64 s[0:1]
	s_add_u32 s0, s0, _Z50ncclDevFunc_AllReduce_RING_SIMPLE_MinMax_f64_0_0_2v@rel32@lo+4
	s_addc_u32 s1, s1, _Z50ncclDevFunc_AllReduce_RING_SIMPLE_MinMax_f64_0_0_2v@rel32@hi+12
	s_delay_alu instid0(SALU_CYCLE_1)
	s_swappc_b64 s[30:31], s[0:1]
	s_mov_b32 s0, 0
.LBB1_173:                              ;   in Loop: Header=BB1_92 Depth=1
	s_delay_alu instid0(SALU_CYCLE_1)
	s_and_not1_b32 vcc_lo, exec_lo, s0
	s_cbranch_vccnz .LBB1_175
; %bb.174:                              ;   in Loop: Header=BB1_92 Depth=1
	v_mov_b32_e32 v31, v40
	s_add_u32 s8, s36, 0x1000
	s_addc_u32 s9, s37, 0
	s_mov_b64 s[4:5], s[38:39]
	s_mov_b64 s[10:11], s[34:35]
	s_mov_b32 s12, s41
	s_mov_b32 s13, s40
	;; [unrolled: 1-line block ×3, first 2 shown]
	s_getpc_b64 s[0:1]
	s_add_u32 s0, s0, _Z50ncclDevFunc_AllReduce_RING_SIMPLE_MinMax_f32_0_0_2v@rel32@lo+4
	s_addc_u32 s1, s1, _Z50ncclDevFunc_AllReduce_RING_SIMPLE_MinMax_f32_0_0_2v@rel32@hi+12
	s_delay_alu instid0(SALU_CYCLE_1)
	s_swappc_b64 s[30:31], s[0:1]
.LBB1_175:                              ;   in Loop: Header=BB1_92 Depth=1
	s_mov_b32 s0, 0
.LBB1_176:                              ;   in Loop: Header=BB1_92 Depth=1
	s_delay_alu instid0(SALU_CYCLE_1)
	s_and_not1_b32 vcc_lo, exec_lo, s0
	s_cbranch_vccnz .LBB1_181
; %bb.177:                              ;   in Loop: Header=BB1_92 Depth=1
	s_cmpk_gt_u32 s48, 0x87
	s_mov_b32 s0, -1
	s_cbranch_scc0 .LBB1_179
; %bb.178:                              ;   in Loop: Header=BB1_92 Depth=1
	v_mov_b32_e32 v31, v40
	s_add_u32 s8, s36, 0x1000
	s_addc_u32 s9, s37, 0
	s_mov_b64 s[4:5], s[38:39]
	s_mov_b64 s[10:11], s[34:35]
	s_mov_b32 s12, s41
	s_mov_b32 s13, s40
	;; [unrolled: 1-line block ×3, first 2 shown]
	s_getpc_b64 s[0:1]
	s_add_u32 s0, s0, _Z50ncclDevFunc_AllReduce_RING_SIMPLE_MinMax_f16_0_0_2v@rel32@lo+4
	s_addc_u32 s1, s1, _Z50ncclDevFunc_AllReduce_RING_SIMPLE_MinMax_f16_0_0_2v@rel32@hi+12
	s_delay_alu instid0(SALU_CYCLE_1)
	s_swappc_b64 s[30:31], s[0:1]
	s_mov_b32 s0, 0
.LBB1_179:                              ;   in Loop: Header=BB1_92 Depth=1
	s_delay_alu instid0(SALU_CYCLE_1)
	s_and_not1_b32 vcc_lo, exec_lo, s0
	s_cbranch_vccnz .LBB1_181
; %bb.180:                              ;   in Loop: Header=BB1_92 Depth=1
	v_mov_b32_e32 v31, v40
	s_add_u32 s8, s36, 0x1000
	s_addc_u32 s9, s37, 0
	s_mov_b64 s[4:5], s[38:39]
	s_mov_b64 s[10:11], s[34:35]
	s_mov_b32 s12, s41
	s_mov_b32 s13, s40
	;; [unrolled: 1-line block ×3, first 2 shown]
	s_getpc_b64 s[0:1]
	s_add_u32 s0, s0, _Z50ncclDevFunc_AllReduce_RING_SIMPLE_MinMax_u64_0_0_2v@rel32@lo+4
	s_addc_u32 s1, s1, _Z50ncclDevFunc_AllReduce_RING_SIMPLE_MinMax_u64_0_0_2v@rel32@hi+12
	s_delay_alu instid0(SALU_CYCLE_1)
	s_swappc_b64 s[30:31], s[0:1]
.LBB1_181:                              ;   in Loop: Header=BB1_92 Depth=1
	s_mov_b32 s0, 0
.LBB1_182:                              ;   in Loop: Header=BB1_92 Depth=1
	s_delay_alu instid0(SALU_CYCLE_1)
	s_and_not1_b32 vcc_lo, exec_lo, s0
	s_cbranch_vccnz .LBB1_266
; %bb.183:                              ;   in Loop: Header=BB1_92 Depth=1
	s_cmpk_gt_u32 s48, 0x6e
	s_mov_b32 s0, -1
	s_cbranch_scc0 .LBB1_225
; %bb.184:                              ;   in Loop: Header=BB1_92 Depth=1
	s_cmpk_gt_u32 s48, 0x79
	s_cbranch_scc0 .LBB1_204
; %bb.185:                              ;   in Loop: Header=BB1_92 Depth=1
	s_cmpk_gt_u32 s48, 0x7f
	;; [unrolled: 3-line block ×3, first 2 shown]
	s_cbranch_scc0 .LBB1_192
; %bb.187:                              ;   in Loop: Header=BB1_92 Depth=1
	s_cmpk_lg_i32 s48, 0x83
	s_cbranch_scc0 .LBB1_189
; %bb.188:                              ;   in Loop: Header=BB1_92 Depth=1
	v_mov_b32_e32 v31, v40
	s_add_u32 s8, s36, 0x1000
	s_addc_u32 s9, s37, 0
	s_mov_b64 s[4:5], s[38:39]
	s_mov_b64 s[10:11], s[34:35]
	s_mov_b32 s12, s41
	s_mov_b32 s13, s40
	;; [unrolled: 1-line block ×3, first 2 shown]
	s_getpc_b64 s[0:1]
	s_add_u32 s0, s0, _Z50ncclDevFunc_AllReduce_RING_SIMPLE_MinMax_u32_0_0_2v@rel32@lo+4
	s_addc_u32 s1, s1, _Z50ncclDevFunc_AllReduce_RING_SIMPLE_MinMax_u32_0_0_2v@rel32@hi+12
	s_delay_alu instid0(SALU_CYCLE_1)
	s_swappc_b64 s[30:31], s[0:1]
	s_mov_b32 s0, 0
.LBB1_189:                              ;   in Loop: Header=BB1_92 Depth=1
	s_delay_alu instid0(SALU_CYCLE_1)
	s_and_not1_b32 vcc_lo, exec_lo, s0
	s_cbranch_vccnz .LBB1_191
; %bb.190:                              ;   in Loop: Header=BB1_92 Depth=1
	v_mov_b32_e32 v31, v40
	s_add_u32 s8, s36, 0x1000
	s_addc_u32 s9, s37, 0
	s_mov_b64 s[4:5], s[38:39]
	s_mov_b64 s[10:11], s[34:35]
	s_mov_b32 s12, s41
	s_mov_b32 s13, s40
	;; [unrolled: 1-line block ×3, first 2 shown]
	s_getpc_b64 s[0:1]
	s_add_u32 s0, s0, _Z49ncclDevFunc_AllReduce_RING_SIMPLE_MinMax_u8_0_0_2v@rel32@lo+4
	s_addc_u32 s1, s1, _Z49ncclDevFunc_AllReduce_RING_SIMPLE_MinMax_u8_0_0_2v@rel32@hi+12
	s_delay_alu instid0(SALU_CYCLE_1)
	s_swappc_b64 s[30:31], s[0:1]
.LBB1_191:                              ;   in Loop: Header=BB1_92 Depth=1
	s_mov_b32 s0, 0
.LBB1_192:                              ;   in Loop: Header=BB1_92 Depth=1
	s_delay_alu instid0(SALU_CYCLE_1)
	s_and_not1_b32 vcc_lo, exec_lo, s0
	s_cbranch_vccnz .LBB1_194
; %bb.193:                              ;   in Loop: Header=BB1_92 Depth=1
	v_mov_b32_e32 v31, v40
	s_add_u32 s8, s36, 0x1000
	s_addc_u32 s9, s37, 0
	s_mov_b64 s[4:5], s[38:39]
	s_mov_b64 s[10:11], s[34:35]
	s_mov_b32 s12, s41
	s_mov_b32 s13, s40
	;; [unrolled: 1-line block ×3, first 2 shown]
	s_getpc_b64 s[0:1]
	s_add_u32 s0, s0, _Z51ncclDevFunc_AllReduce_RING_SIMPLE_Prod_f8e5m2_0_0_2v@rel32@lo+4
	s_addc_u32 s1, s1, _Z51ncclDevFunc_AllReduce_RING_SIMPLE_Prod_f8e5m2_0_0_2v@rel32@hi+12
	s_delay_alu instid0(SALU_CYCLE_1)
	s_swappc_b64 s[30:31], s[0:1]
.LBB1_194:                              ;   in Loop: Header=BB1_92 Depth=1
	s_mov_b32 s0, 0
.LBB1_195:                              ;   in Loop: Header=BB1_92 Depth=1
	s_delay_alu instid0(SALU_CYCLE_1)
	s_and_not1_b32 vcc_lo, exec_lo, s0
	s_cbranch_vccnz .LBB1_203
; %bb.196:                              ;   in Loop: Header=BB1_92 Depth=1
	s_cmpk_gt_u32 s48, 0x7c
	s_mov_b32 s0, -1
	s_cbranch_scc0 .LBB1_198
; %bb.197:                              ;   in Loop: Header=BB1_92 Depth=1
	v_mov_b32_e32 v31, v40
	s_add_u32 s8, s36, 0x1000
	s_addc_u32 s9, s37, 0
	s_mov_b64 s[4:5], s[38:39]
	s_mov_b64 s[10:11], s[34:35]
	s_mov_b32 s12, s41
	s_mov_b32 s13, s40
	;; [unrolled: 1-line block ×3, first 2 shown]
	s_getpc_b64 s[0:1]
	s_add_u32 s0, s0, _Z51ncclDevFunc_AllReduce_RING_SIMPLE_Prod_f8e4m3_0_0_2v@rel32@lo+4
	s_addc_u32 s1, s1, _Z51ncclDevFunc_AllReduce_RING_SIMPLE_Prod_f8e4m3_0_0_2v@rel32@hi+12
	s_delay_alu instid0(SALU_CYCLE_1)
	s_swappc_b64 s[30:31], s[0:1]
	s_mov_b32 s0, 0
.LBB1_198:                              ;   in Loop: Header=BB1_92 Depth=1
	s_delay_alu instid0(SALU_CYCLE_1)
	s_and_not1_b32 vcc_lo, exec_lo, s0
	s_cbranch_vccnz .LBB1_203
; %bb.199:                              ;   in Loop: Header=BB1_92 Depth=1
	s_cmpk_eq_i32 s48, 0x7c
	s_mov_b32 s0, -1
	s_cbranch_scc1 .LBB1_201
; %bb.200:                              ;   in Loop: Header=BB1_92 Depth=1
	v_mov_b32_e32 v31, v40
	s_add_u32 s8, s36, 0x1000
	s_addc_u32 s9, s37, 0
	s_mov_b64 s[4:5], s[38:39]
	s_mov_b64 s[10:11], s[34:35]
	s_mov_b32 s12, s41
	s_mov_b32 s13, s40
	;; [unrolled: 1-line block ×3, first 2 shown]
	s_getpc_b64 s[0:1]
	s_add_u32 s0, s0, _Z49ncclDevFunc_AllReduce_RING_SIMPLE_Prod_bf16_0_0_2v@rel32@lo+4
	s_addc_u32 s1, s1, _Z49ncclDevFunc_AllReduce_RING_SIMPLE_Prod_bf16_0_0_2v@rel32@hi+12
	s_delay_alu instid0(SALU_CYCLE_1)
	s_swappc_b64 s[30:31], s[0:1]
	s_mov_b32 s0, 0
.LBB1_201:                              ;   in Loop: Header=BB1_92 Depth=1
	s_delay_alu instid0(SALU_CYCLE_1)
	s_and_not1_b32 vcc_lo, exec_lo, s0
	s_cbranch_vccnz .LBB1_203
; %bb.202:                              ;   in Loop: Header=BB1_92 Depth=1
	v_mov_b32_e32 v31, v40
	s_add_u32 s8, s36, 0x1000
	s_addc_u32 s9, s37, 0
	s_mov_b64 s[4:5], s[38:39]
	s_mov_b64 s[10:11], s[34:35]
	s_mov_b32 s12, s41
	s_mov_b32 s13, s40
	;; [unrolled: 1-line block ×3, first 2 shown]
	s_getpc_b64 s[0:1]
	s_add_u32 s0, s0, _Z49ncclDevFunc_AllReduce_RING_SIMPLE_Prod_bf16_0_1_2v@rel32@lo+4
	s_addc_u32 s1, s1, _Z49ncclDevFunc_AllReduce_RING_SIMPLE_Prod_bf16_0_1_2v@rel32@hi+12
	s_delay_alu instid0(SALU_CYCLE_1)
	s_swappc_b64 s[30:31], s[0:1]
.LBB1_203:                              ;   in Loop: Header=BB1_92 Depth=1
	s_mov_b32 s0, 0
.LBB1_204:                              ;   in Loop: Header=BB1_92 Depth=1
	s_delay_alu instid0(SALU_CYCLE_1)
	s_and_not1_b32 vcc_lo, exec_lo, s0
	s_cbranch_vccnz .LBB1_224
; %bb.205:                              ;   in Loop: Header=BB1_92 Depth=1
	s_cmpk_gt_u32 s48, 0x73
	s_mov_b32 s0, -1
	s_cbranch_scc0 .LBB1_215
; %bb.206:                              ;   in Loop: Header=BB1_92 Depth=1
	s_cmpk_gt_u32 s48, 0x76
	s_cbranch_scc0 .LBB1_212
; %bb.207:                              ;   in Loop: Header=BB1_92 Depth=1
	s_cmpk_lg_i32 s48, 0x77
	s_cbranch_scc0 .LBB1_209
; %bb.208:                              ;   in Loop: Header=BB1_92 Depth=1
	v_mov_b32_e32 v31, v40
	s_add_u32 s8, s36, 0x1000
	s_addc_u32 s9, s37, 0
	s_mov_b64 s[4:5], s[38:39]
	s_mov_b64 s[10:11], s[34:35]
	s_mov_b32 s12, s41
	s_mov_b32 s13, s40
	s_mov_b32 s14, s33
	s_getpc_b64 s[0:1]
	s_add_u32 s0, s0, _Z48ncclDevFunc_AllReduce_RING_SIMPLE_Prod_f64_0_0_2v@rel32@lo+4
	s_addc_u32 s1, s1, _Z48ncclDevFunc_AllReduce_RING_SIMPLE_Prod_f64_0_0_2v@rel32@hi+12
	s_delay_alu instid0(SALU_CYCLE_1)
	s_swappc_b64 s[30:31], s[0:1]
	s_mov_b32 s0, 0
.LBB1_209:                              ;   in Loop: Header=BB1_92 Depth=1
	s_delay_alu instid0(SALU_CYCLE_1)
	s_and_not1_b32 vcc_lo, exec_lo, s0
	s_cbranch_vccnz .LBB1_211
; %bb.210:                              ;   in Loop: Header=BB1_92 Depth=1
	v_mov_b32_e32 v31, v40
	s_add_u32 s8, s36, 0x1000
	s_addc_u32 s9, s37, 0
	s_mov_b64 s[4:5], s[38:39]
	s_mov_b64 s[10:11], s[34:35]
	s_mov_b32 s12, s41
	s_mov_b32 s13, s40
	;; [unrolled: 1-line block ×3, first 2 shown]
	s_getpc_b64 s[0:1]
	s_add_u32 s0, s0, _Z48ncclDevFunc_AllReduce_RING_SIMPLE_Prod_f32_0_0_2v@rel32@lo+4
	s_addc_u32 s1, s1, _Z48ncclDevFunc_AllReduce_RING_SIMPLE_Prod_f32_0_0_2v@rel32@hi+12
	s_delay_alu instid0(SALU_CYCLE_1)
	s_swappc_b64 s[30:31], s[0:1]
.LBB1_211:                              ;   in Loop: Header=BB1_92 Depth=1
	s_mov_b32 s0, 0
.LBB1_212:                              ;   in Loop: Header=BB1_92 Depth=1
	s_delay_alu instid0(SALU_CYCLE_1)
	s_and_not1_b32 vcc_lo, exec_lo, s0
	s_cbranch_vccnz .LBB1_214
; %bb.213:                              ;   in Loop: Header=BB1_92 Depth=1
	v_mov_b32_e32 v31, v40
	s_add_u32 s8, s36, 0x1000
	s_addc_u32 s9, s37, 0
	s_mov_b64 s[4:5], s[38:39]
	s_mov_b64 s[10:11], s[34:35]
	s_mov_b32 s12, s41
	s_mov_b32 s13, s40
	;; [unrolled: 1-line block ×3, first 2 shown]
	s_getpc_b64 s[0:1]
	s_add_u32 s0, s0, _Z48ncclDevFunc_AllReduce_RING_SIMPLE_Prod_f16_0_0_2v@rel32@lo+4
	s_addc_u32 s1, s1, _Z48ncclDevFunc_AllReduce_RING_SIMPLE_Prod_f16_0_0_2v@rel32@hi+12
	s_delay_alu instid0(SALU_CYCLE_1)
	s_swappc_b64 s[30:31], s[0:1]
.LBB1_214:                              ;   in Loop: Header=BB1_92 Depth=1
	s_mov_b32 s0, 0
.LBB1_215:                              ;   in Loop: Header=BB1_92 Depth=1
	s_delay_alu instid0(SALU_CYCLE_1)
	s_and_not1_b32 vcc_lo, exec_lo, s0
	s_cbranch_vccnz .LBB1_224
; %bb.216:                              ;   in Loop: Header=BB1_92 Depth=1
	s_cmpk_gt_u32 s48, 0x70
	s_mov_b32 s0, -1
	s_cbranch_scc0 .LBB1_222
; %bb.217:                              ;   in Loop: Header=BB1_92 Depth=1
	s_cmpk_lg_i32 s48, 0x71
	s_cbranch_scc0 .LBB1_219
; %bb.218:                              ;   in Loop: Header=BB1_92 Depth=1
	v_mov_b32_e32 v31, v40
	s_add_u32 s8, s36, 0x1000
	s_addc_u32 s9, s37, 0
	s_mov_b64 s[4:5], s[38:39]
	s_mov_b64 s[10:11], s[34:35]
	s_mov_b32 s12, s41
	s_mov_b32 s13, s40
	;; [unrolled: 1-line block ×3, first 2 shown]
	s_getpc_b64 s[0:1]
	s_add_u32 s0, s0, _Z48ncclDevFunc_AllReduce_RING_SIMPLE_Prod_u64_0_0_2v@rel32@lo+4
	s_addc_u32 s1, s1, _Z48ncclDevFunc_AllReduce_RING_SIMPLE_Prod_u64_0_0_2v@rel32@hi+12
	s_delay_alu instid0(SALU_CYCLE_1)
	s_swappc_b64 s[30:31], s[0:1]
	s_mov_b32 s0, 0
.LBB1_219:                              ;   in Loop: Header=BB1_92 Depth=1
	s_delay_alu instid0(SALU_CYCLE_1)
	s_and_not1_b32 vcc_lo, exec_lo, s0
	s_cbranch_vccnz .LBB1_221
; %bb.220:                              ;   in Loop: Header=BB1_92 Depth=1
	v_mov_b32_e32 v31, v40
	s_add_u32 s8, s36, 0x1000
	s_addc_u32 s9, s37, 0
	s_mov_b64 s[4:5], s[38:39]
	s_mov_b64 s[10:11], s[34:35]
	s_mov_b32 s12, s41
	s_mov_b32 s13, s40
	;; [unrolled: 1-line block ×3, first 2 shown]
	s_getpc_b64 s[0:1]
	s_add_u32 s0, s0, _Z48ncclDevFunc_AllReduce_RING_SIMPLE_Prod_u32_0_0_2v@rel32@lo+4
	s_addc_u32 s1, s1, _Z48ncclDevFunc_AllReduce_RING_SIMPLE_Prod_u32_0_0_2v@rel32@hi+12
	s_delay_alu instid0(SALU_CYCLE_1)
	s_swappc_b64 s[30:31], s[0:1]
.LBB1_221:                              ;   in Loop: Header=BB1_92 Depth=1
	s_mov_b32 s0, 0
.LBB1_222:                              ;   in Loop: Header=BB1_92 Depth=1
	s_delay_alu instid0(SALU_CYCLE_1)
	s_and_not1_b32 vcc_lo, exec_lo, s0
	s_cbranch_vccnz .LBB1_224
; %bb.223:                              ;   in Loop: Header=BB1_92 Depth=1
	v_mov_b32_e32 v31, v40
	s_add_u32 s8, s36, 0x1000
	s_addc_u32 s9, s37, 0
	s_mov_b64 s[4:5], s[38:39]
	s_mov_b64 s[10:11], s[34:35]
	s_mov_b32 s12, s41
	s_mov_b32 s13, s40
	s_mov_b32 s14, s33
	s_getpc_b64 s[0:1]
	s_add_u32 s0, s0, _Z47ncclDevFunc_AllReduce_RING_SIMPLE_Prod_u8_0_0_2v@rel32@lo+4
	s_addc_u32 s1, s1, _Z47ncclDevFunc_AllReduce_RING_SIMPLE_Prod_u8_0_0_2v@rel32@hi+12
	s_delay_alu instid0(SALU_CYCLE_1)
	s_swappc_b64 s[30:31], s[0:1]
.LBB1_224:                              ;   in Loop: Header=BB1_92 Depth=1
	s_mov_b32 s0, 0
.LBB1_225:                              ;   in Loop: Header=BB1_92 Depth=1
	s_delay_alu instid0(SALU_CYCLE_1)
	s_and_not1_b32 vcc_lo, exec_lo, s0
	s_cbranch_vccnz .LBB1_266
; %bb.226:                              ;   in Loop: Header=BB1_92 Depth=1
	s_cmpk_gt_u32 s48, 0x63
	s_mov_b32 s0, -1
	s_cbranch_scc0 .LBB1_243
; %bb.227:                              ;   in Loop: Header=BB1_92 Depth=1
	s_cmpk_gt_u32 s48, 0x68
	s_cbranch_scc0 .LBB1_233
; %bb.228:                              ;   in Loop: Header=BB1_92 Depth=1
	s_cmpk_gt_u32 s48, 0x6b
	s_cbranch_scc0 .LBB1_230
; %bb.229:                              ;   in Loop: Header=BB1_92 Depth=1
	v_mov_b32_e32 v31, v40
	s_add_u32 s8, s36, 0x1000
	s_addc_u32 s9, s37, 0
	s_mov_b64 s[4:5], s[38:39]
	s_mov_b64 s[10:11], s[34:35]
	s_mov_b32 s12, s41
	s_mov_b32 s13, s40
	;; [unrolled: 1-line block ×3, first 2 shown]
	s_getpc_b64 s[0:1]
	s_add_u32 s0, s0, _Z50ncclDevFunc_AllReduce_RING_SIMPLE_Sum_f8e5m2_0_0_2v@rel32@lo+4
	s_addc_u32 s1, s1, _Z50ncclDevFunc_AllReduce_RING_SIMPLE_Sum_f8e5m2_0_0_2v@rel32@hi+12
	s_delay_alu instid0(SALU_CYCLE_1)
	s_swappc_b64 s[30:31], s[0:1]
	s_mov_b32 s0, 0
.LBB1_230:                              ;   in Loop: Header=BB1_92 Depth=1
	s_delay_alu instid0(SALU_CYCLE_1)
	s_and_not1_b32 vcc_lo, exec_lo, s0
	s_cbranch_vccnz .LBB1_232
; %bb.231:                              ;   in Loop: Header=BB1_92 Depth=1
	v_mov_b32_e32 v31, v40
	s_add_u32 s8, s36, 0x1000
	s_addc_u32 s9, s37, 0
	s_mov_b64 s[4:5], s[38:39]
	s_mov_b64 s[10:11], s[34:35]
	s_mov_b32 s12, s41
	s_mov_b32 s13, s40
	;; [unrolled: 1-line block ×3, first 2 shown]
	s_getpc_b64 s[0:1]
	s_add_u32 s0, s0, _Z50ncclDevFunc_AllReduce_RING_SIMPLE_Sum_f8e4m3_0_0_2v@rel32@lo+4
	s_addc_u32 s1, s1, _Z50ncclDevFunc_AllReduce_RING_SIMPLE_Sum_f8e4m3_0_0_2v@rel32@hi+12
	s_delay_alu instid0(SALU_CYCLE_1)
	s_swappc_b64 s[30:31], s[0:1]
.LBB1_232:                              ;   in Loop: Header=BB1_92 Depth=1
	s_mov_b32 s0, 0
.LBB1_233:                              ;   in Loop: Header=BB1_92 Depth=1
	s_delay_alu instid0(SALU_CYCLE_1)
	s_and_not1_b32 vcc_lo, exec_lo, s0
	s_cbranch_vccnz .LBB1_242
; %bb.234:                              ;   in Loop: Header=BB1_92 Depth=1
	s_cmpk_gt_u32 s48, 0x65
	s_mov_b32 s0, -1
	s_cbranch_scc0 .LBB1_240
; %bb.235:                              ;   in Loop: Header=BB1_92 Depth=1
	s_cmpk_eq_i32 s48, 0x68
	s_cbranch_scc1 .LBB1_237
; %bb.236:                              ;   in Loop: Header=BB1_92 Depth=1
	v_mov_b32_e32 v31, v40
	s_add_u32 s8, s36, 0x1000
	s_addc_u32 s9, s37, 0
	s_mov_b64 s[4:5], s[38:39]
	s_mov_b64 s[10:11], s[34:35]
	s_mov_b32 s12, s41
	s_mov_b32 s13, s40
	;; [unrolled: 1-line block ×3, first 2 shown]
	s_getpc_b64 s[0:1]
	s_add_u32 s0, s0, _Z48ncclDevFunc_AllReduce_RING_SIMPLE_Sum_bf16_0_0_2v@rel32@lo+4
	s_addc_u32 s1, s1, _Z48ncclDevFunc_AllReduce_RING_SIMPLE_Sum_bf16_0_0_2v@rel32@hi+12
	s_delay_alu instid0(SALU_CYCLE_1)
	s_swappc_b64 s[30:31], s[0:1]
	s_mov_b32 s0, 0
.LBB1_237:                              ;   in Loop: Header=BB1_92 Depth=1
	s_delay_alu instid0(SALU_CYCLE_1)
	s_and_not1_b32 vcc_lo, exec_lo, s0
	s_cbranch_vccnz .LBB1_239
; %bb.238:                              ;   in Loop: Header=BB1_92 Depth=1
	v_mov_b32_e32 v31, v40
	s_add_u32 s8, s36, 0x1000
	s_addc_u32 s9, s37, 0
	s_mov_b64 s[4:5], s[38:39]
	s_mov_b64 s[10:11], s[34:35]
	s_mov_b32 s12, s41
	s_mov_b32 s13, s40
	;; [unrolled: 1-line block ×3, first 2 shown]
	s_getpc_b64 s[0:1]
	s_add_u32 s0, s0, _Z48ncclDevFunc_AllReduce_RING_SIMPLE_Sum_bf16_0_1_2v@rel32@lo+4
	s_addc_u32 s1, s1, _Z48ncclDevFunc_AllReduce_RING_SIMPLE_Sum_bf16_0_1_2v@rel32@hi+12
	s_delay_alu instid0(SALU_CYCLE_1)
	s_swappc_b64 s[30:31], s[0:1]
.LBB1_239:                              ;   in Loop: Header=BB1_92 Depth=1
	s_mov_b32 s0, 0
.LBB1_240:                              ;   in Loop: Header=BB1_92 Depth=1
	s_delay_alu instid0(SALU_CYCLE_1)
	s_and_not1_b32 vcc_lo, exec_lo, s0
	s_cbranch_vccnz .LBB1_242
; %bb.241:                              ;   in Loop: Header=BB1_92 Depth=1
	v_mov_b32_e32 v31, v40
	s_add_u32 s8, s36, 0x1000
	s_addc_u32 s9, s37, 0
	s_mov_b64 s[4:5], s[38:39]
	s_mov_b64 s[10:11], s[34:35]
	s_mov_b32 s12, s41
	s_mov_b32 s13, s40
	;; [unrolled: 1-line block ×3, first 2 shown]
	s_getpc_b64 s[0:1]
	s_add_u32 s0, s0, _Z47ncclDevFunc_AllReduce_RING_SIMPLE_Sum_f64_0_0_2v@rel32@lo+4
	s_addc_u32 s1, s1, _Z47ncclDevFunc_AllReduce_RING_SIMPLE_Sum_f64_0_0_2v@rel32@hi+12
	s_delay_alu instid0(SALU_CYCLE_1)
	s_swappc_b64 s[30:31], s[0:1]
.LBB1_242:                              ;   in Loop: Header=BB1_92 Depth=1
	s_mov_b32 s0, 0
.LBB1_243:                              ;   in Loop: Header=BB1_92 Depth=1
	s_delay_alu instid0(SALU_CYCLE_1)
	s_and_not1_b32 vcc_lo, exec_lo, s0
	s_cbranch_vccnz .LBB1_266
; %bb.244:                              ;   in Loop: Header=BB1_92 Depth=1
	s_cmpk_gt_u32 s48, 0x5d
	s_mov_b32 s0, -1
	s_cbranch_scc0 .LBB1_254
; %bb.245:                              ;   in Loop: Header=BB1_92 Depth=1
	s_cmpk_gt_u32 s48, 0x60
	s_cbranch_scc0 .LBB1_251
; %bb.246:                              ;   in Loop: Header=BB1_92 Depth=1
	s_cmpk_lg_i32 s48, 0x61
	s_cbranch_scc0 .LBB1_248
; %bb.247:                              ;   in Loop: Header=BB1_92 Depth=1
	v_mov_b32_e32 v31, v40
	s_add_u32 s8, s36, 0x1000
	s_addc_u32 s9, s37, 0
	s_mov_b64 s[4:5], s[38:39]
	s_mov_b64 s[10:11], s[34:35]
	s_mov_b32 s12, s41
	s_mov_b32 s13, s40
	s_mov_b32 s14, s33
	s_getpc_b64 s[0:1]
	s_add_u32 s0, s0, _Z47ncclDevFunc_AllReduce_RING_SIMPLE_Sum_f32_0_0_2v@rel32@lo+4
	s_addc_u32 s1, s1, _Z47ncclDevFunc_AllReduce_RING_SIMPLE_Sum_f32_0_0_2v@rel32@hi+12
	s_delay_alu instid0(SALU_CYCLE_1)
	s_swappc_b64 s[30:31], s[0:1]
	s_mov_b32 s0, 0
.LBB1_248:                              ;   in Loop: Header=BB1_92 Depth=1
	s_delay_alu instid0(SALU_CYCLE_1)
	s_and_not1_b32 vcc_lo, exec_lo, s0
	s_cbranch_vccnz .LBB1_250
; %bb.249:                              ;   in Loop: Header=BB1_92 Depth=1
	v_mov_b32_e32 v31, v40
	s_add_u32 s8, s36, 0x1000
	s_addc_u32 s9, s37, 0
	s_mov_b64 s[4:5], s[38:39]
	s_mov_b64 s[10:11], s[34:35]
	s_mov_b32 s12, s41
	s_mov_b32 s13, s40
	;; [unrolled: 1-line block ×3, first 2 shown]
	s_getpc_b64 s[0:1]
	s_add_u32 s0, s0, _Z47ncclDevFunc_AllReduce_RING_SIMPLE_Sum_f16_0_0_2v@rel32@lo+4
	s_addc_u32 s1, s1, _Z47ncclDevFunc_AllReduce_RING_SIMPLE_Sum_f16_0_0_2v@rel32@hi+12
	s_delay_alu instid0(SALU_CYCLE_1)
	s_swappc_b64 s[30:31], s[0:1]
.LBB1_250:                              ;   in Loop: Header=BB1_92 Depth=1
	s_mov_b32 s0, 0
.LBB1_251:                              ;   in Loop: Header=BB1_92 Depth=1
	s_delay_alu instid0(SALU_CYCLE_1)
	s_and_not1_b32 vcc_lo, exec_lo, s0
	s_cbranch_vccnz .LBB1_253
; %bb.252:                              ;   in Loop: Header=BB1_92 Depth=1
	v_mov_b32_e32 v31, v40
	s_add_u32 s8, s36, 0x1000
	s_addc_u32 s9, s37, 0
	s_mov_b64 s[4:5], s[38:39]
	s_mov_b64 s[10:11], s[34:35]
	s_mov_b32 s12, s41
	s_mov_b32 s13, s40
	;; [unrolled: 1-line block ×3, first 2 shown]
	s_getpc_b64 s[0:1]
	s_add_u32 s0, s0, _Z47ncclDevFunc_AllReduce_RING_SIMPLE_Sum_u64_0_0_2v@rel32@lo+4
	s_addc_u32 s1, s1, _Z47ncclDevFunc_AllReduce_RING_SIMPLE_Sum_u64_0_0_2v@rel32@hi+12
	s_delay_alu instid0(SALU_CYCLE_1)
	s_swappc_b64 s[30:31], s[0:1]
.LBB1_253:                              ;   in Loop: Header=BB1_92 Depth=1
	s_mov_b32 s0, 0
.LBB1_254:                              ;   in Loop: Header=BB1_92 Depth=1
	s_delay_alu instid0(SALU_CYCLE_1)
	s_and_not1_b32 vcc_lo, exec_lo, s0
	s_cbranch_vccnz .LBB1_266
; %bb.255:                              ;   in Loop: Header=BB1_92 Depth=1
	s_cmpk_gt_u32 s48, 0x5a
	s_mov_b32 s0, -1
	s_cbranch_scc0 .LBB1_261
; %bb.256:                              ;   in Loop: Header=BB1_92 Depth=1
	s_cmpk_lg_i32 s48, 0x5b
	s_cbranch_scc0 .LBB1_258
; %bb.257:                              ;   in Loop: Header=BB1_92 Depth=1
	v_mov_b32_e32 v31, v40
	s_add_u32 s8, s36, 0x1000
	s_addc_u32 s9, s37, 0
	s_mov_b64 s[4:5], s[38:39]
	s_mov_b64 s[10:11], s[34:35]
	s_mov_b32 s12, s41
	s_mov_b32 s13, s40
	s_mov_b32 s14, s33
	s_getpc_b64 s[0:1]
	s_add_u32 s0, s0, _Z47ncclDevFunc_AllReduce_RING_SIMPLE_Sum_u32_0_0_2v@rel32@lo+4
	s_addc_u32 s1, s1, _Z47ncclDevFunc_AllReduce_RING_SIMPLE_Sum_u32_0_0_2v@rel32@hi+12
	s_delay_alu instid0(SALU_CYCLE_1)
	s_swappc_b64 s[30:31], s[0:1]
	s_mov_b32 s0, 0
.LBB1_258:                              ;   in Loop: Header=BB1_92 Depth=1
	s_delay_alu instid0(SALU_CYCLE_1)
	s_and_not1_b32 vcc_lo, exec_lo, s0
	s_cbranch_vccnz .LBB1_260
; %bb.259:                              ;   in Loop: Header=BB1_92 Depth=1
	v_mov_b32_e32 v31, v40
	s_add_u32 s8, s36, 0x1000
	s_addc_u32 s9, s37, 0
	s_mov_b64 s[4:5], s[38:39]
	s_mov_b64 s[10:11], s[34:35]
	s_mov_b32 s12, s41
	s_mov_b32 s13, s40
	;; [unrolled: 1-line block ×3, first 2 shown]
	s_getpc_b64 s[0:1]
	s_add_u32 s0, s0, _Z46ncclDevFunc_AllReduce_RING_SIMPLE_Sum_u8_0_0_2v@rel32@lo+4
	s_addc_u32 s1, s1, _Z46ncclDevFunc_AllReduce_RING_SIMPLE_Sum_u8_0_0_2v@rel32@hi+12
	s_delay_alu instid0(SALU_CYCLE_1)
	s_swappc_b64 s[30:31], s[0:1]
.LBB1_260:                              ;   in Loop: Header=BB1_92 Depth=1
	s_mov_b32 s0, 0
.LBB1_261:                              ;   in Loop: Header=BB1_92 Depth=1
	s_delay_alu instid0(SALU_CYCLE_1)
	s_and_not1_b32 vcc_lo, exec_lo, s0
	s_cbranch_vccnz .LBB1_266
; %bb.262:                              ;   in Loop: Header=BB1_92 Depth=1
	s_cmpk_eq_i32 s48, 0x5a
	s_mov_b32 s0, -1
	s_cbranch_scc1 .LBB1_264
; %bb.263:                              ;   in Loop: Header=BB1_92 Depth=1
	v_mov_b32_e32 v31, v40
	s_add_u32 s8, s36, 0x1000
	s_addc_u32 s9, s37, 0
	s_mov_b64 s[4:5], s[38:39]
	s_mov_b64 s[10:11], s[34:35]
	s_mov_b32 s12, s41
	s_mov_b32 s13, s40
	;; [unrolled: 1-line block ×3, first 2 shown]
	s_getpc_b64 s[0:1]
	s_add_u32 s0, s0, _Z54ncclDevFunc_ReduceScatter_RING_LL_SumPostDiv_u32_0_0_2v@rel32@lo+4
	s_addc_u32 s1, s1, _Z54ncclDevFunc_ReduceScatter_RING_LL_SumPostDiv_u32_0_0_2v@rel32@hi+12
	s_delay_alu instid0(SALU_CYCLE_1)
	s_swappc_b64 s[30:31], s[0:1]
	s_mov_b32 s0, 0
.LBB1_264:                              ;   in Loop: Header=BB1_92 Depth=1
	s_delay_alu instid0(SALU_CYCLE_1)
	s_and_not1_b32 vcc_lo, exec_lo, s0
	s_cbranch_vccnz .LBB1_266
; %bb.265:                              ;   in Loop: Header=BB1_92 Depth=1
	v_mov_b32_e32 v31, v40
	s_add_u32 s8, s36, 0x1000
	s_addc_u32 s9, s37, 0
	s_mov_b64 s[4:5], s[38:39]
	s_mov_b64 s[10:11], s[34:35]
	s_mov_b32 s12, s41
	s_mov_b32 s13, s40
	;; [unrolled: 1-line block ×3, first 2 shown]
	s_getpc_b64 s[0:1]
	s_add_u32 s0, s0, _Z54ncclDevFunc_ReduceScatter_RING_LL_SumPostDiv_u64_0_0_2v@rel32@lo+4
	s_addc_u32 s1, s1, _Z54ncclDevFunc_ReduceScatter_RING_LL_SumPostDiv_u64_0_0_2v@rel32@hi+12
	s_delay_alu instid0(SALU_CYCLE_1)
	s_swappc_b64 s[30:31], s[0:1]
.LBB1_266:                              ;   in Loop: Header=BB1_92 Depth=1
	s_mov_b32 s0, 0
.LBB1_267:                              ;   in Loop: Header=BB1_92 Depth=1
	s_delay_alu instid0(SALU_CYCLE_1)
	s_and_not1_b32 vcc_lo, exec_lo, s0
	s_cbranch_vccnz .LBB1_578
; %bb.268:                              ;   in Loop: Header=BB1_92 Depth=1
	s_delay_alu instid0(VALU_DEP_1)
	s_cmp_gt_u32 s48, 43
	s_mov_b32 s0, -1
	s_cbranch_scc0 .LBB1_423
; %bb.269:                              ;   in Loop: Header=BB1_92 Depth=1
	s_cmpk_gt_u32 s48, 0x41
	s_cbranch_scc0 .LBB1_352
; %bb.270:                              ;   in Loop: Header=BB1_92 Depth=1
	s_cmpk_gt_u32 s48, 0x4c
	;; [unrolled: 3-line block ×4, first 2 shown]
	s_cbranch_scc0 .LBB1_282
; %bb.273:                              ;   in Loop: Header=BB1_92 Depth=1
	v_cmp_gt_i16_e64 s0, 0x57, s48
	s_delay_alu instid0(VALU_DEP_1)
	s_and_b32 vcc_lo, exec_lo, s0
	s_mov_b32 s0, -1
	s_cbranch_vccnz .LBB1_279
; %bb.274:                              ;   in Loop: Header=BB1_92 Depth=1
	v_cmp_ne_u16_e64 s0, 0x57, s48
	s_delay_alu instid0(VALU_DEP_1)
	s_and_b32 vcc_lo, exec_lo, s0
	s_mov_b32 s0, -1
	s_cbranch_vccz .LBB1_276
; %bb.275:                              ;   in Loop: Header=BB1_92 Depth=1
	v_mov_b32_e32 v31, v40
	s_add_u32 s8, s36, 0x1000
	s_addc_u32 s9, s37, 0
	s_mov_b64 s[4:5], s[38:39]
	s_mov_b64 s[10:11], s[34:35]
	s_mov_b32 s12, s41
	s_mov_b32 s13, s40
	;; [unrolled: 1-line block ×3, first 2 shown]
	s_getpc_b64 s[0:1]
	s_add_u32 s0, s0, _Z53ncclDevFunc_ReduceScatter_RING_LL_SumPostDiv_u8_0_0_2v@rel32@lo+4
	s_addc_u32 s1, s1, _Z53ncclDevFunc_ReduceScatter_RING_LL_SumPostDiv_u8_0_0_2v@rel32@hi+12
	s_delay_alu instid0(SALU_CYCLE_1)
	s_swappc_b64 s[30:31], s[0:1]
	s_mov_b32 s0, 0
.LBB1_276:                              ;   in Loop: Header=BB1_92 Depth=1
	s_delay_alu instid0(SALU_CYCLE_1)
	s_and_not1_b32 vcc_lo, exec_lo, s0
	s_cbranch_vccnz .LBB1_278
; %bb.277:                              ;   in Loop: Header=BB1_92 Depth=1
	v_mov_b32_e32 v31, v40
	s_add_u32 s8, s36, 0x1000
	s_addc_u32 s9, s37, 0
	s_mov_b64 s[4:5], s[38:39]
	s_mov_b64 s[10:11], s[34:35]
	s_mov_b32 s12, s41
	s_mov_b32 s13, s40
	;; [unrolled: 1-line block ×3, first 2 shown]
	s_getpc_b64 s[0:1]
	s_add_u32 s0, s0, _Z56ncclDevFunc_ReduceScatter_RING_LL_PreMulSum_f8e5m2_0_0_2v@rel32@lo+4
	s_addc_u32 s1, s1, _Z56ncclDevFunc_ReduceScatter_RING_LL_PreMulSum_f8e5m2_0_0_2v@rel32@hi+12
	s_delay_alu instid0(SALU_CYCLE_1)
	s_swappc_b64 s[30:31], s[0:1]
.LBB1_278:                              ;   in Loop: Header=BB1_92 Depth=1
	s_mov_b32 s0, 0
.LBB1_279:                              ;   in Loop: Header=BB1_92 Depth=1
	s_delay_alu instid0(SALU_CYCLE_1)
	s_and_not1_b32 vcc_lo, exec_lo, s0
	s_cbranch_vccnz .LBB1_281
; %bb.280:                              ;   in Loop: Header=BB1_92 Depth=1
	v_mov_b32_e32 v31, v40
	s_add_u32 s8, s36, 0x1000
	s_addc_u32 s9, s37, 0
	s_mov_b64 s[4:5], s[38:39]
	s_mov_b64 s[10:11], s[34:35]
	s_mov_b32 s12, s41
	s_mov_b32 s13, s40
	;; [unrolled: 1-line block ×3, first 2 shown]
	s_getpc_b64 s[0:1]
	s_add_u32 s0, s0, _Z56ncclDevFunc_ReduceScatter_RING_LL_PreMulSum_f8e4m3_0_0_2v@rel32@lo+4
	s_addc_u32 s1, s1, _Z56ncclDevFunc_ReduceScatter_RING_LL_PreMulSum_f8e4m3_0_0_2v@rel32@hi+12
	s_delay_alu instid0(SALU_CYCLE_1)
	s_swappc_b64 s[30:31], s[0:1]
.LBB1_281:                              ;   in Loop: Header=BB1_92 Depth=1
	s_mov_b32 s0, 0
.LBB1_282:                              ;   in Loop: Header=BB1_92 Depth=1
	s_delay_alu instid0(SALU_CYCLE_1)
	s_and_b32 vcc_lo, exec_lo, s0
	s_cbranch_vccz .LBB1_291
; %bb.283:                              ;   in Loop: Header=BB1_92 Depth=1
	v_cmp_gt_i16_e64 s0, 0x54, s48
	s_delay_alu instid0(VALU_DEP_1)
	s_and_b32 vcc_lo, exec_lo, s0
	s_mov_b32 s0, -1
	s_cbranch_vccnz .LBB1_289
; %bb.284:                              ;   in Loop: Header=BB1_92 Depth=1
	v_cmp_ne_u16_e64 s0, 0x54, s48
	s_delay_alu instid0(VALU_DEP_1)
	s_and_b32 vcc_lo, exec_lo, s0
	s_mov_b32 s0, -1
	s_cbranch_vccz .LBB1_286
; %bb.285:                              ;   in Loop: Header=BB1_92 Depth=1
	v_mov_b32_e32 v31, v40
	s_add_u32 s8, s36, 0x1000
	s_addc_u32 s9, s37, 0
	s_mov_b64 s[4:5], s[38:39]
	s_mov_b64 s[10:11], s[34:35]
	s_mov_b32 s12, s41
	s_mov_b32 s13, s40
	;; [unrolled: 1-line block ×3, first 2 shown]
	s_getpc_b64 s[0:1]
	s_add_u32 s0, s0, _Z54ncclDevFunc_ReduceScatter_RING_LL_PreMulSum_bf16_0_0_2v@rel32@lo+4
	s_addc_u32 s1, s1, _Z54ncclDevFunc_ReduceScatter_RING_LL_PreMulSum_bf16_0_0_2v@rel32@hi+12
	s_delay_alu instid0(SALU_CYCLE_1)
	s_swappc_b64 s[30:31], s[0:1]
	s_mov_b32 s0, 0
.LBB1_286:                              ;   in Loop: Header=BB1_92 Depth=1
	s_delay_alu instid0(SALU_CYCLE_1)
	s_and_not1_b32 vcc_lo, exec_lo, s0
	s_cbranch_vccnz .LBB1_288
; %bb.287:                              ;   in Loop: Header=BB1_92 Depth=1
	v_mov_b32_e32 v31, v40
	s_add_u32 s8, s36, 0x1000
	s_addc_u32 s9, s37, 0
	s_mov_b64 s[4:5], s[38:39]
	s_mov_b64 s[10:11], s[34:35]
	s_mov_b32 s12, s41
	s_mov_b32 s13, s40
	;; [unrolled: 1-line block ×3, first 2 shown]
	s_getpc_b64 s[0:1]
	s_add_u32 s0, s0, _Z53ncclDevFunc_ReduceScatter_RING_LL_PreMulSum_f64_0_0_2v@rel32@lo+4
	s_addc_u32 s1, s1, _Z53ncclDevFunc_ReduceScatter_RING_LL_PreMulSum_f64_0_0_2v@rel32@hi+12
	s_delay_alu instid0(SALU_CYCLE_1)
	s_swappc_b64 s[30:31], s[0:1]
.LBB1_288:                              ;   in Loop: Header=BB1_92 Depth=1
	s_mov_b32 s0, 0
.LBB1_289:                              ;   in Loop: Header=BB1_92 Depth=1
	s_delay_alu instid0(SALU_CYCLE_1)
	s_and_not1_b32 vcc_lo, exec_lo, s0
	s_cbranch_vccnz .LBB1_291
; %bb.290:                              ;   in Loop: Header=BB1_92 Depth=1
	v_mov_b32_e32 v31, v40
	s_add_u32 s8, s36, 0x1000
	s_addc_u32 s9, s37, 0
	s_mov_b64 s[4:5], s[38:39]
	s_mov_b64 s[10:11], s[34:35]
	s_mov_b32 s12, s41
	s_mov_b32 s13, s40
	;; [unrolled: 1-line block ×3, first 2 shown]
	s_getpc_b64 s[0:1]
	s_add_u32 s0, s0, _Z53ncclDevFunc_ReduceScatter_RING_LL_PreMulSum_f32_0_0_2v@rel32@lo+4
	s_addc_u32 s1, s1, _Z53ncclDevFunc_ReduceScatter_RING_LL_PreMulSum_f32_0_0_2v@rel32@hi+12
	s_delay_alu instid0(SALU_CYCLE_1)
	s_swappc_b64 s[30:31], s[0:1]
.LBB1_291:                              ;   in Loop: Header=BB1_92 Depth=1
	s_mov_b32 s0, 0
.LBB1_292:                              ;   in Loop: Header=BB1_92 Depth=1
	s_delay_alu instid0(SALU_CYCLE_1)
	s_and_not1_b32 vcc_lo, exec_lo, s0
	s_cbranch_vccnz .LBB1_312
; %bb.293:                              ;   in Loop: Header=BB1_92 Depth=1
	s_cmpk_gt_u32 s48, 0x4f
	s_mov_b32 s0, -1
	s_cbranch_scc0 .LBB1_303
; %bb.294:                              ;   in Loop: Header=BB1_92 Depth=1
	v_cmp_gt_i16_e64 s0, 0x51, s48
	s_delay_alu instid0(VALU_DEP_1)
	s_and_b32 vcc_lo, exec_lo, s0
	s_mov_b32 s0, -1
	s_cbranch_vccnz .LBB1_300
; %bb.295:                              ;   in Loop: Header=BB1_92 Depth=1
	v_cmp_ne_u16_e64 s0, 0x51, s48
	s_delay_alu instid0(VALU_DEP_1)
	s_and_b32 vcc_lo, exec_lo, s0
	s_mov_b32 s0, -1
	s_cbranch_vccz .LBB1_297
; %bb.296:                              ;   in Loop: Header=BB1_92 Depth=1
	v_mov_b32_e32 v31, v40
	s_add_u32 s8, s36, 0x1000
	s_addc_u32 s9, s37, 0
	s_mov_b64 s[4:5], s[38:39]
	s_mov_b64 s[10:11], s[34:35]
	s_mov_b32 s12, s41
	s_mov_b32 s13, s40
	;; [unrolled: 1-line block ×3, first 2 shown]
	s_getpc_b64 s[0:1]
	s_add_u32 s0, s0, _Z53ncclDevFunc_ReduceScatter_RING_LL_PreMulSum_f16_0_0_2v@rel32@lo+4
	s_addc_u32 s1, s1, _Z53ncclDevFunc_ReduceScatter_RING_LL_PreMulSum_f16_0_0_2v@rel32@hi+12
	s_delay_alu instid0(SALU_CYCLE_1)
	s_swappc_b64 s[30:31], s[0:1]
	s_mov_b32 s0, 0
.LBB1_297:                              ;   in Loop: Header=BB1_92 Depth=1
	s_delay_alu instid0(SALU_CYCLE_1)
	s_and_not1_b32 vcc_lo, exec_lo, s0
	s_cbranch_vccnz .LBB1_299
; %bb.298:                              ;   in Loop: Header=BB1_92 Depth=1
	v_mov_b32_e32 v31, v40
	s_add_u32 s8, s36, 0x1000
	s_addc_u32 s9, s37, 0
	s_mov_b64 s[4:5], s[38:39]
	s_mov_b64 s[10:11], s[34:35]
	s_mov_b32 s12, s41
	s_mov_b32 s13, s40
	;; [unrolled: 1-line block ×3, first 2 shown]
	s_getpc_b64 s[0:1]
	s_add_u32 s0, s0, _Z53ncclDevFunc_ReduceScatter_RING_LL_PreMulSum_u64_0_0_2v@rel32@lo+4
	s_addc_u32 s1, s1, _Z53ncclDevFunc_ReduceScatter_RING_LL_PreMulSum_u64_0_0_2v@rel32@hi+12
	s_delay_alu instid0(SALU_CYCLE_1)
	s_swappc_b64 s[30:31], s[0:1]
.LBB1_299:                              ;   in Loop: Header=BB1_92 Depth=1
	s_mov_b32 s0, 0
.LBB1_300:                              ;   in Loop: Header=BB1_92 Depth=1
	s_delay_alu instid0(SALU_CYCLE_1)
	s_and_not1_b32 vcc_lo, exec_lo, s0
	s_cbranch_vccnz .LBB1_302
; %bb.301:                              ;   in Loop: Header=BB1_92 Depth=1
	v_mov_b32_e32 v31, v40
	s_add_u32 s8, s36, 0x1000
	s_addc_u32 s9, s37, 0
	s_mov_b64 s[4:5], s[38:39]
	s_mov_b64 s[10:11], s[34:35]
	s_mov_b32 s12, s41
	s_mov_b32 s13, s40
	s_mov_b32 s14, s33
	s_getpc_b64 s[0:1]
	s_add_u32 s0, s0, _Z53ncclDevFunc_ReduceScatter_RING_LL_PreMulSum_u32_0_0_2v@rel32@lo+4
	s_addc_u32 s1, s1, _Z53ncclDevFunc_ReduceScatter_RING_LL_PreMulSum_u32_0_0_2v@rel32@hi+12
	s_delay_alu instid0(SALU_CYCLE_1)
	s_swappc_b64 s[30:31], s[0:1]
.LBB1_302:                              ;   in Loop: Header=BB1_92 Depth=1
	s_mov_b32 s0, 0
.LBB1_303:                              ;   in Loop: Header=BB1_92 Depth=1
	s_delay_alu instid0(SALU_CYCLE_1)
	s_and_b32 vcc_lo, exec_lo, s0
	s_cbranch_vccz .LBB1_312
; %bb.304:                              ;   in Loop: Header=BB1_92 Depth=1
	v_cmp_gt_i16_e64 s0, 0x4e, s48
	s_delay_alu instid0(VALU_DEP_1)
	s_and_b32 vcc_lo, exec_lo, s0
	s_mov_b32 s0, -1
	s_cbranch_vccnz .LBB1_310
; %bb.305:                              ;   in Loop: Header=BB1_92 Depth=1
	v_cmp_ne_u16_e64 s0, 0x4e, s48
	s_delay_alu instid0(VALU_DEP_1)
	s_and_b32 vcc_lo, exec_lo, s0
	s_mov_b32 s0, -1
	s_cbranch_vccz .LBB1_307
; %bb.306:                              ;   in Loop: Header=BB1_92 Depth=1
	v_mov_b32_e32 v31, v40
	s_add_u32 s8, s36, 0x1000
	s_addc_u32 s9, s37, 0
	s_mov_b64 s[4:5], s[38:39]
	s_mov_b64 s[10:11], s[34:35]
	s_mov_b32 s12, s41
	s_mov_b32 s13, s40
	;; [unrolled: 1-line block ×3, first 2 shown]
	s_getpc_b64 s[0:1]
	s_add_u32 s0, s0, _Z52ncclDevFunc_ReduceScatter_RING_LL_PreMulSum_u8_0_0_2v@rel32@lo+4
	s_addc_u32 s1, s1, _Z52ncclDevFunc_ReduceScatter_RING_LL_PreMulSum_u8_0_0_2v@rel32@hi+12
	s_delay_alu instid0(SALU_CYCLE_1)
	s_swappc_b64 s[30:31], s[0:1]
	s_mov_b32 s0, 0
.LBB1_307:                              ;   in Loop: Header=BB1_92 Depth=1
	s_delay_alu instid0(SALU_CYCLE_1)
	s_and_not1_b32 vcc_lo, exec_lo, s0
	s_cbranch_vccnz .LBB1_309
; %bb.308:                              ;   in Loop: Header=BB1_92 Depth=1
	v_mov_b32_e32 v31, v40
	s_add_u32 s8, s36, 0x1000
	s_addc_u32 s9, s37, 0
	s_mov_b64 s[4:5], s[38:39]
	s_mov_b64 s[10:11], s[34:35]
	s_mov_b32 s12, s41
	s_mov_b32 s13, s40
	;; [unrolled: 1-line block ×3, first 2 shown]
	s_getpc_b64 s[0:1]
	s_add_u32 s0, s0, _Z53ncclDevFunc_ReduceScatter_RING_LL_MinMax_f8e5m2_0_0_2v@rel32@lo+4
	s_addc_u32 s1, s1, _Z53ncclDevFunc_ReduceScatter_RING_LL_MinMax_f8e5m2_0_0_2v@rel32@hi+12
	s_delay_alu instid0(SALU_CYCLE_1)
	s_swappc_b64 s[30:31], s[0:1]
.LBB1_309:                              ;   in Loop: Header=BB1_92 Depth=1
	s_mov_b32 s0, 0
.LBB1_310:                              ;   in Loop: Header=BB1_92 Depth=1
	s_delay_alu instid0(SALU_CYCLE_1)
	s_and_not1_b32 vcc_lo, exec_lo, s0
	s_cbranch_vccnz .LBB1_312
; %bb.311:                              ;   in Loop: Header=BB1_92 Depth=1
	v_mov_b32_e32 v31, v40
	s_add_u32 s8, s36, 0x1000
	s_addc_u32 s9, s37, 0
	s_mov_b64 s[4:5], s[38:39]
	s_mov_b64 s[10:11], s[34:35]
	s_mov_b32 s12, s41
	s_mov_b32 s13, s40
	;; [unrolled: 1-line block ×3, first 2 shown]
	s_getpc_b64 s[0:1]
	s_add_u32 s0, s0, _Z53ncclDevFunc_ReduceScatter_RING_LL_MinMax_f8e4m3_0_0_2v@rel32@lo+4
	s_addc_u32 s1, s1, _Z53ncclDevFunc_ReduceScatter_RING_LL_MinMax_f8e4m3_0_0_2v@rel32@hi+12
	s_delay_alu instid0(SALU_CYCLE_1)
	s_swappc_b64 s[30:31], s[0:1]
.LBB1_312:                              ;   in Loop: Header=BB1_92 Depth=1
	s_mov_b32 s0, 0
.LBB1_313:                              ;   in Loop: Header=BB1_92 Depth=1
	s_delay_alu instid0(SALU_CYCLE_1)
	s_and_not1_b32 vcc_lo, exec_lo, s0
	s_cbranch_vccnz .LBB1_351
; %bb.314:                              ;   in Loop: Header=BB1_92 Depth=1
	s_cmpk_gt_u32 s48, 0x46
	s_mov_b32 s0, -1
	s_cbranch_scc0 .LBB1_335
; %bb.315:                              ;   in Loop: Header=BB1_92 Depth=1
	s_cmpk_gt_u32 s48, 0x49
	s_cbranch_scc0 .LBB1_325
; %bb.316:                              ;   in Loop: Header=BB1_92 Depth=1
	v_cmp_gt_i16_e64 s0, 0x4b, s48
	s_delay_alu instid0(VALU_DEP_1)
	s_and_b32 vcc_lo, exec_lo, s0
	s_mov_b32 s0, -1
	s_cbranch_vccnz .LBB1_322
; %bb.317:                              ;   in Loop: Header=BB1_92 Depth=1
	v_cmp_ne_u16_e64 s0, 0x4b, s48
	s_delay_alu instid0(VALU_DEP_1)
	s_and_b32 vcc_lo, exec_lo, s0
	s_mov_b32 s0, -1
	s_cbranch_vccz .LBB1_319
; %bb.318:                              ;   in Loop: Header=BB1_92 Depth=1
	v_mov_b32_e32 v31, v40
	s_add_u32 s8, s36, 0x1000
	s_addc_u32 s9, s37, 0
	s_mov_b64 s[4:5], s[38:39]
	s_mov_b64 s[10:11], s[34:35]
	s_mov_b32 s12, s41
	s_mov_b32 s13, s40
	;; [unrolled: 1-line block ×3, first 2 shown]
	s_getpc_b64 s[0:1]
	s_add_u32 s0, s0, _Z51ncclDevFunc_ReduceScatter_RING_LL_MinMax_bf16_0_0_2v@rel32@lo+4
	s_addc_u32 s1, s1, _Z51ncclDevFunc_ReduceScatter_RING_LL_MinMax_bf16_0_0_2v@rel32@hi+12
	s_delay_alu instid0(SALU_CYCLE_1)
	s_swappc_b64 s[30:31], s[0:1]
	s_mov_b32 s0, 0
.LBB1_319:                              ;   in Loop: Header=BB1_92 Depth=1
	s_delay_alu instid0(SALU_CYCLE_1)
	s_and_not1_b32 vcc_lo, exec_lo, s0
	s_cbranch_vccnz .LBB1_321
; %bb.320:                              ;   in Loop: Header=BB1_92 Depth=1
	v_mov_b32_e32 v31, v40
	s_add_u32 s8, s36, 0x1000
	s_addc_u32 s9, s37, 0
	s_mov_b64 s[4:5], s[38:39]
	s_mov_b64 s[10:11], s[34:35]
	s_mov_b32 s12, s41
	s_mov_b32 s13, s40
	;; [unrolled: 1-line block ×3, first 2 shown]
	s_getpc_b64 s[0:1]
	s_add_u32 s0, s0, _Z50ncclDevFunc_ReduceScatter_RING_LL_MinMax_f64_0_0_2v@rel32@lo+4
	s_addc_u32 s1, s1, _Z50ncclDevFunc_ReduceScatter_RING_LL_MinMax_f64_0_0_2v@rel32@hi+12
	s_delay_alu instid0(SALU_CYCLE_1)
	s_swappc_b64 s[30:31], s[0:1]
.LBB1_321:                              ;   in Loop: Header=BB1_92 Depth=1
	s_mov_b32 s0, 0
.LBB1_322:                              ;   in Loop: Header=BB1_92 Depth=1
	s_delay_alu instid0(SALU_CYCLE_1)
	s_and_not1_b32 vcc_lo, exec_lo, s0
	s_cbranch_vccnz .LBB1_324
; %bb.323:                              ;   in Loop: Header=BB1_92 Depth=1
	v_mov_b32_e32 v31, v40
	s_add_u32 s8, s36, 0x1000
	s_addc_u32 s9, s37, 0
	s_mov_b64 s[4:5], s[38:39]
	s_mov_b64 s[10:11], s[34:35]
	s_mov_b32 s12, s41
	s_mov_b32 s13, s40
	;; [unrolled: 1-line block ×3, first 2 shown]
	s_getpc_b64 s[0:1]
	s_add_u32 s0, s0, _Z50ncclDevFunc_ReduceScatter_RING_LL_MinMax_f32_0_0_2v@rel32@lo+4
	s_addc_u32 s1, s1, _Z50ncclDevFunc_ReduceScatter_RING_LL_MinMax_f32_0_0_2v@rel32@hi+12
	s_delay_alu instid0(SALU_CYCLE_1)
	s_swappc_b64 s[30:31], s[0:1]
.LBB1_324:                              ;   in Loop: Header=BB1_92 Depth=1
	s_mov_b32 s0, 0
.LBB1_325:                              ;   in Loop: Header=BB1_92 Depth=1
	s_delay_alu instid0(SALU_CYCLE_1)
	s_and_b32 vcc_lo, exec_lo, s0
	s_cbranch_vccz .LBB1_334
; %bb.326:                              ;   in Loop: Header=BB1_92 Depth=1
	v_cmp_gt_i16_e64 s0, 0x48, s48
	s_delay_alu instid0(VALU_DEP_1)
	s_and_b32 vcc_lo, exec_lo, s0
	s_mov_b32 s0, -1
	s_cbranch_vccnz .LBB1_332
; %bb.327:                              ;   in Loop: Header=BB1_92 Depth=1
	v_cmp_ne_u16_e64 s0, 0x48, s48
	s_delay_alu instid0(VALU_DEP_1)
	s_and_b32 vcc_lo, exec_lo, s0
	s_mov_b32 s0, -1
	s_cbranch_vccz .LBB1_329
; %bb.328:                              ;   in Loop: Header=BB1_92 Depth=1
	v_mov_b32_e32 v31, v40
	s_add_u32 s8, s36, 0x1000
	s_addc_u32 s9, s37, 0
	s_mov_b64 s[4:5], s[38:39]
	s_mov_b64 s[10:11], s[34:35]
	s_mov_b32 s12, s41
	s_mov_b32 s13, s40
	;; [unrolled: 1-line block ×3, first 2 shown]
	s_getpc_b64 s[0:1]
	s_add_u32 s0, s0, _Z50ncclDevFunc_ReduceScatter_RING_LL_MinMax_f16_0_0_2v@rel32@lo+4
	s_addc_u32 s1, s1, _Z50ncclDevFunc_ReduceScatter_RING_LL_MinMax_f16_0_0_2v@rel32@hi+12
	s_delay_alu instid0(SALU_CYCLE_1)
	s_swappc_b64 s[30:31], s[0:1]
	s_mov_b32 s0, 0
.LBB1_329:                              ;   in Loop: Header=BB1_92 Depth=1
	s_delay_alu instid0(SALU_CYCLE_1)
	s_and_not1_b32 vcc_lo, exec_lo, s0
	s_cbranch_vccnz .LBB1_331
; %bb.330:                              ;   in Loop: Header=BB1_92 Depth=1
	v_mov_b32_e32 v31, v40
	s_add_u32 s8, s36, 0x1000
	s_addc_u32 s9, s37, 0
	s_mov_b64 s[4:5], s[38:39]
	s_mov_b64 s[10:11], s[34:35]
	s_mov_b32 s12, s41
	s_mov_b32 s13, s40
	;; [unrolled: 1-line block ×3, first 2 shown]
	s_getpc_b64 s[0:1]
	s_add_u32 s0, s0, _Z50ncclDevFunc_ReduceScatter_RING_LL_MinMax_u64_0_0_2v@rel32@lo+4
	s_addc_u32 s1, s1, _Z50ncclDevFunc_ReduceScatter_RING_LL_MinMax_u64_0_0_2v@rel32@hi+12
	s_delay_alu instid0(SALU_CYCLE_1)
	s_swappc_b64 s[30:31], s[0:1]
.LBB1_331:                              ;   in Loop: Header=BB1_92 Depth=1
	s_mov_b32 s0, 0
.LBB1_332:                              ;   in Loop: Header=BB1_92 Depth=1
	s_delay_alu instid0(SALU_CYCLE_1)
	s_and_not1_b32 vcc_lo, exec_lo, s0
	s_cbranch_vccnz .LBB1_334
; %bb.333:                              ;   in Loop: Header=BB1_92 Depth=1
	v_mov_b32_e32 v31, v40
	s_add_u32 s8, s36, 0x1000
	s_addc_u32 s9, s37, 0
	s_mov_b64 s[4:5], s[38:39]
	s_mov_b64 s[10:11], s[34:35]
	s_mov_b32 s12, s41
	s_mov_b32 s13, s40
	;; [unrolled: 1-line block ×3, first 2 shown]
	s_getpc_b64 s[0:1]
	s_add_u32 s0, s0, _Z50ncclDevFunc_ReduceScatter_RING_LL_MinMax_u32_0_0_2v@rel32@lo+4
	s_addc_u32 s1, s1, _Z50ncclDevFunc_ReduceScatter_RING_LL_MinMax_u32_0_0_2v@rel32@hi+12
	s_delay_alu instid0(SALU_CYCLE_1)
	s_swappc_b64 s[30:31], s[0:1]
.LBB1_334:                              ;   in Loop: Header=BB1_92 Depth=1
	s_mov_b32 s0, 0
.LBB1_335:                              ;   in Loop: Header=BB1_92 Depth=1
	s_delay_alu instid0(SALU_CYCLE_1)
	s_and_not1_b32 vcc_lo, exec_lo, s0
	s_cbranch_vccnz .LBB1_351
; %bb.336:                              ;   in Loop: Header=BB1_92 Depth=1
	s_cmpk_gt_u32 s48, 0x43
	s_mov_b32 s0, -1
	s_cbranch_scc0 .LBB1_346
; %bb.337:                              ;   in Loop: Header=BB1_92 Depth=1
	v_cmp_gt_i16_e64 s0, 0x45, s48
	s_delay_alu instid0(VALU_DEP_1)
	s_and_b32 vcc_lo, exec_lo, s0
	s_mov_b32 s0, -1
	s_cbranch_vccnz .LBB1_343
; %bb.338:                              ;   in Loop: Header=BB1_92 Depth=1
	v_cmp_ne_u16_e64 s0, 0x45, s48
	s_delay_alu instid0(VALU_DEP_1)
	s_and_b32 vcc_lo, exec_lo, s0
	s_mov_b32 s0, -1
	s_cbranch_vccz .LBB1_340
; %bb.339:                              ;   in Loop: Header=BB1_92 Depth=1
	v_mov_b32_e32 v31, v40
	s_add_u32 s8, s36, 0x1000
	s_addc_u32 s9, s37, 0
	s_mov_b64 s[4:5], s[38:39]
	s_mov_b64 s[10:11], s[34:35]
	s_mov_b32 s12, s41
	s_mov_b32 s13, s40
	;; [unrolled: 1-line block ×3, first 2 shown]
	s_getpc_b64 s[0:1]
	s_add_u32 s0, s0, _Z49ncclDevFunc_ReduceScatter_RING_LL_MinMax_u8_0_0_2v@rel32@lo+4
	s_addc_u32 s1, s1, _Z49ncclDevFunc_ReduceScatter_RING_LL_MinMax_u8_0_0_2v@rel32@hi+12
	s_delay_alu instid0(SALU_CYCLE_1)
	s_swappc_b64 s[30:31], s[0:1]
	s_mov_b32 s0, 0
.LBB1_340:                              ;   in Loop: Header=BB1_92 Depth=1
	s_delay_alu instid0(SALU_CYCLE_1)
	s_and_not1_b32 vcc_lo, exec_lo, s0
	s_cbranch_vccnz .LBB1_342
; %bb.341:                              ;   in Loop: Header=BB1_92 Depth=1
	v_mov_b32_e32 v31, v40
	s_add_u32 s8, s36, 0x1000
	s_addc_u32 s9, s37, 0
	s_mov_b64 s[4:5], s[38:39]
	s_mov_b64 s[10:11], s[34:35]
	s_mov_b32 s12, s41
	s_mov_b32 s13, s40
	;; [unrolled: 1-line block ×3, first 2 shown]
	s_getpc_b64 s[0:1]
	s_add_u32 s0, s0, _Z51ncclDevFunc_ReduceScatter_RING_LL_Prod_f8e5m2_0_0_2v@rel32@lo+4
	s_addc_u32 s1, s1, _Z51ncclDevFunc_ReduceScatter_RING_LL_Prod_f8e5m2_0_0_2v@rel32@hi+12
	s_delay_alu instid0(SALU_CYCLE_1)
	s_swappc_b64 s[30:31], s[0:1]
.LBB1_342:                              ;   in Loop: Header=BB1_92 Depth=1
	s_mov_b32 s0, 0
.LBB1_343:                              ;   in Loop: Header=BB1_92 Depth=1
	s_delay_alu instid0(SALU_CYCLE_1)
	s_and_not1_b32 vcc_lo, exec_lo, s0
	s_cbranch_vccnz .LBB1_345
; %bb.344:                              ;   in Loop: Header=BB1_92 Depth=1
	v_mov_b32_e32 v31, v40
	s_add_u32 s8, s36, 0x1000
	s_addc_u32 s9, s37, 0
	s_mov_b64 s[4:5], s[38:39]
	s_mov_b64 s[10:11], s[34:35]
	s_mov_b32 s12, s41
	s_mov_b32 s13, s40
	;; [unrolled: 1-line block ×3, first 2 shown]
	s_getpc_b64 s[0:1]
	s_add_u32 s0, s0, _Z51ncclDevFunc_ReduceScatter_RING_LL_Prod_f8e4m3_0_0_2v@rel32@lo+4
	s_addc_u32 s1, s1, _Z51ncclDevFunc_ReduceScatter_RING_LL_Prod_f8e4m3_0_0_2v@rel32@hi+12
	s_delay_alu instid0(SALU_CYCLE_1)
	s_swappc_b64 s[30:31], s[0:1]
.LBB1_345:                              ;   in Loop: Header=BB1_92 Depth=1
	s_mov_b32 s0, 0
.LBB1_346:                              ;   in Loop: Header=BB1_92 Depth=1
	s_delay_alu instid0(SALU_CYCLE_1)
	s_and_b32 vcc_lo, exec_lo, s0
	s_cbranch_vccz .LBB1_351
; %bb.347:                              ;   in Loop: Header=BB1_92 Depth=1
	s_cmpk_eq_i32 s48, 0x43
	s_mov_b32 s0, -1
	s_cbranch_scc1 .LBB1_349
; %bb.348:                              ;   in Loop: Header=BB1_92 Depth=1
	v_mov_b32_e32 v31, v40
	s_add_u32 s8, s36, 0x1000
	s_addc_u32 s9, s37, 0
	s_mov_b64 s[4:5], s[38:39]
	s_mov_b64 s[10:11], s[34:35]
	s_mov_b32 s12, s41
	s_mov_b32 s13, s40
	;; [unrolled: 1-line block ×3, first 2 shown]
	s_getpc_b64 s[0:1]
	s_add_u32 s0, s0, _Z48ncclDevFunc_ReduceScatter_RING_LL_Prod_f64_0_0_2v@rel32@lo+4
	s_addc_u32 s1, s1, _Z48ncclDevFunc_ReduceScatter_RING_LL_Prod_f64_0_0_2v@rel32@hi+12
	s_delay_alu instid0(SALU_CYCLE_1)
	s_swappc_b64 s[30:31], s[0:1]
	s_mov_b32 s0, 0
.LBB1_349:                              ;   in Loop: Header=BB1_92 Depth=1
	s_delay_alu instid0(SALU_CYCLE_1)
	s_and_not1_b32 vcc_lo, exec_lo, s0
	s_cbranch_vccnz .LBB1_351
; %bb.350:                              ;   in Loop: Header=BB1_92 Depth=1
	v_mov_b32_e32 v31, v40
	s_add_u32 s8, s36, 0x1000
	s_addc_u32 s9, s37, 0
	s_mov_b64 s[4:5], s[38:39]
	s_mov_b64 s[10:11], s[34:35]
	s_mov_b32 s12, s41
	s_mov_b32 s13, s40
	;; [unrolled: 1-line block ×3, first 2 shown]
	s_getpc_b64 s[0:1]
	s_add_u32 s0, s0, _Z49ncclDevFunc_ReduceScatter_RING_LL_Prod_bf16_0_0_2v@rel32@lo+4
	s_addc_u32 s1, s1, _Z49ncclDevFunc_ReduceScatter_RING_LL_Prod_bf16_0_0_2v@rel32@hi+12
	s_delay_alu instid0(SALU_CYCLE_1)
	s_swappc_b64 s[30:31], s[0:1]
.LBB1_351:                              ;   in Loop: Header=BB1_92 Depth=1
	s_mov_b32 s0, 0
.LBB1_352:                              ;   in Loop: Header=BB1_92 Depth=1
	s_delay_alu instid0(SALU_CYCLE_1)
	s_and_not1_b32 vcc_lo, exec_lo, s0
	s_cbranch_vccnz .LBB1_422
; %bb.353:                              ;   in Loop: Header=BB1_92 Depth=1
	s_cmp_gt_u32 s48, 54
	s_mov_b32 s0, -1
	s_cbranch_scc0 .LBB1_392
; %bb.354:                              ;   in Loop: Header=BB1_92 Depth=1
	s_cmp_gt_u32 s48, 59
	s_cbranch_scc0 .LBB1_375
; %bb.355:                              ;   in Loop: Header=BB1_92 Depth=1
	s_cmp_gt_u32 s48, 62
	s_cbranch_scc0 .LBB1_365
; %bb.356:                              ;   in Loop: Header=BB1_92 Depth=1
	v_cmp_lt_i16_e64 s0, s48, 64
	s_delay_alu instid0(VALU_DEP_1)
	s_and_b32 vcc_lo, exec_lo, s0
	s_mov_b32 s0, -1
	s_cbranch_vccnz .LBB1_362
; %bb.357:                              ;   in Loop: Header=BB1_92 Depth=1
	v_cmp_ne_u16_e64 s0, s48, 64
	s_delay_alu instid0(VALU_DEP_1)
	s_and_b32 vcc_lo, exec_lo, s0
	s_mov_b32 s0, -1
	s_cbranch_vccz .LBB1_359
; %bb.358:                              ;   in Loop: Header=BB1_92 Depth=1
	v_mov_b32_e32 v31, v40
	s_add_u32 s8, s36, 0x1000
	s_addc_u32 s9, s37, 0
	s_mov_b64 s[4:5], s[38:39]
	s_mov_b64 s[10:11], s[34:35]
	s_mov_b32 s12, s41
	s_mov_b32 s13, s40
	;; [unrolled: 1-line block ×3, first 2 shown]
	s_getpc_b64 s[0:1]
	s_add_u32 s0, s0, _Z48ncclDevFunc_ReduceScatter_RING_LL_Prod_f32_0_0_2v@rel32@lo+4
	s_addc_u32 s1, s1, _Z48ncclDevFunc_ReduceScatter_RING_LL_Prod_f32_0_0_2v@rel32@hi+12
	s_delay_alu instid0(SALU_CYCLE_1)
	s_swappc_b64 s[30:31], s[0:1]
	s_mov_b32 s0, 0
.LBB1_359:                              ;   in Loop: Header=BB1_92 Depth=1
	s_delay_alu instid0(SALU_CYCLE_1)
	s_and_not1_b32 vcc_lo, exec_lo, s0
	s_cbranch_vccnz .LBB1_361
; %bb.360:                              ;   in Loop: Header=BB1_92 Depth=1
	v_mov_b32_e32 v31, v40
	s_add_u32 s8, s36, 0x1000
	s_addc_u32 s9, s37, 0
	s_mov_b64 s[4:5], s[38:39]
	s_mov_b64 s[10:11], s[34:35]
	s_mov_b32 s12, s41
	s_mov_b32 s13, s40
	;; [unrolled: 1-line block ×3, first 2 shown]
	s_getpc_b64 s[0:1]
	s_add_u32 s0, s0, _Z48ncclDevFunc_ReduceScatter_RING_LL_Prod_f16_0_0_2v@rel32@lo+4
	s_addc_u32 s1, s1, _Z48ncclDevFunc_ReduceScatter_RING_LL_Prod_f16_0_0_2v@rel32@hi+12
	s_delay_alu instid0(SALU_CYCLE_1)
	s_swappc_b64 s[30:31], s[0:1]
.LBB1_361:                              ;   in Loop: Header=BB1_92 Depth=1
	s_mov_b32 s0, 0
.LBB1_362:                              ;   in Loop: Header=BB1_92 Depth=1
	s_delay_alu instid0(SALU_CYCLE_1)
	s_and_not1_b32 vcc_lo, exec_lo, s0
	s_cbranch_vccnz .LBB1_364
; %bb.363:                              ;   in Loop: Header=BB1_92 Depth=1
	v_mov_b32_e32 v31, v40
	s_add_u32 s8, s36, 0x1000
	s_addc_u32 s9, s37, 0
	s_mov_b64 s[4:5], s[38:39]
	s_mov_b64 s[10:11], s[34:35]
	s_mov_b32 s12, s41
	s_mov_b32 s13, s40
	;; [unrolled: 1-line block ×3, first 2 shown]
	s_getpc_b64 s[0:1]
	s_add_u32 s0, s0, _Z48ncclDevFunc_ReduceScatter_RING_LL_Prod_u64_0_0_2v@rel32@lo+4
	s_addc_u32 s1, s1, _Z48ncclDevFunc_ReduceScatter_RING_LL_Prod_u64_0_0_2v@rel32@hi+12
	s_delay_alu instid0(SALU_CYCLE_1)
	s_swappc_b64 s[30:31], s[0:1]
.LBB1_364:                              ;   in Loop: Header=BB1_92 Depth=1
	s_mov_b32 s0, 0
.LBB1_365:                              ;   in Loop: Header=BB1_92 Depth=1
	s_delay_alu instid0(SALU_CYCLE_1)
	s_and_b32 vcc_lo, exec_lo, s0
	s_cbranch_vccz .LBB1_374
; %bb.366:                              ;   in Loop: Header=BB1_92 Depth=1
	v_cmp_lt_i16_e64 s0, s48, 61
	s_delay_alu instid0(VALU_DEP_1)
	s_and_b32 vcc_lo, exec_lo, s0
	s_mov_b32 s0, -1
	s_cbranch_vccnz .LBB1_372
; %bb.367:                              ;   in Loop: Header=BB1_92 Depth=1
	v_cmp_ne_u16_e64 s0, s48, 61
	s_delay_alu instid0(VALU_DEP_1)
	s_and_b32 vcc_lo, exec_lo, s0
	s_mov_b32 s0, -1
	s_cbranch_vccz .LBB1_369
; %bb.368:                              ;   in Loop: Header=BB1_92 Depth=1
	v_mov_b32_e32 v31, v40
	s_add_u32 s8, s36, 0x1000
	s_addc_u32 s9, s37, 0
	s_mov_b64 s[4:5], s[38:39]
	s_mov_b64 s[10:11], s[34:35]
	s_mov_b32 s12, s41
	s_mov_b32 s13, s40
	;; [unrolled: 1-line block ×3, first 2 shown]
	s_getpc_b64 s[0:1]
	s_add_u32 s0, s0, _Z48ncclDevFunc_ReduceScatter_RING_LL_Prod_u32_0_0_2v@rel32@lo+4
	s_addc_u32 s1, s1, _Z48ncclDevFunc_ReduceScatter_RING_LL_Prod_u32_0_0_2v@rel32@hi+12
	s_delay_alu instid0(SALU_CYCLE_1)
	s_swappc_b64 s[30:31], s[0:1]
	s_mov_b32 s0, 0
.LBB1_369:                              ;   in Loop: Header=BB1_92 Depth=1
	s_delay_alu instid0(SALU_CYCLE_1)
	s_and_not1_b32 vcc_lo, exec_lo, s0
	s_cbranch_vccnz .LBB1_371
; %bb.370:                              ;   in Loop: Header=BB1_92 Depth=1
	v_mov_b32_e32 v31, v40
	s_add_u32 s8, s36, 0x1000
	s_addc_u32 s9, s37, 0
	s_mov_b64 s[4:5], s[38:39]
	s_mov_b64 s[10:11], s[34:35]
	s_mov_b32 s12, s41
	s_mov_b32 s13, s40
	;; [unrolled: 1-line block ×3, first 2 shown]
	s_getpc_b64 s[0:1]
	s_add_u32 s0, s0, _Z47ncclDevFunc_ReduceScatter_RING_LL_Prod_u8_0_0_2v@rel32@lo+4
	s_addc_u32 s1, s1, _Z47ncclDevFunc_ReduceScatter_RING_LL_Prod_u8_0_0_2v@rel32@hi+12
	s_delay_alu instid0(SALU_CYCLE_1)
	s_swappc_b64 s[30:31], s[0:1]
.LBB1_371:                              ;   in Loop: Header=BB1_92 Depth=1
	s_mov_b32 s0, 0
.LBB1_372:                              ;   in Loop: Header=BB1_92 Depth=1
	s_delay_alu instid0(SALU_CYCLE_1)
	s_and_not1_b32 vcc_lo, exec_lo, s0
	s_cbranch_vccnz .LBB1_374
; %bb.373:                              ;   in Loop: Header=BB1_92 Depth=1
	v_mov_b32_e32 v31, v40
	s_add_u32 s8, s36, 0x1000
	s_addc_u32 s9, s37, 0
	s_mov_b64 s[4:5], s[38:39]
	s_mov_b64 s[10:11], s[34:35]
	s_mov_b32 s12, s41
	s_mov_b32 s13, s40
	;; [unrolled: 1-line block ×3, first 2 shown]
	s_getpc_b64 s[0:1]
	s_add_u32 s0, s0, _Z50ncclDevFunc_ReduceScatter_RING_LL_Sum_f8e5m2_0_0_2v@rel32@lo+4
	s_addc_u32 s1, s1, _Z50ncclDevFunc_ReduceScatter_RING_LL_Sum_f8e5m2_0_0_2v@rel32@hi+12
	s_delay_alu instid0(SALU_CYCLE_1)
	s_swappc_b64 s[30:31], s[0:1]
.LBB1_374:                              ;   in Loop: Header=BB1_92 Depth=1
	s_mov_b32 s0, 0
.LBB1_375:                              ;   in Loop: Header=BB1_92 Depth=1
	s_delay_alu instid0(SALU_CYCLE_1)
	s_and_not1_b32 vcc_lo, exec_lo, s0
	s_cbranch_vccnz .LBB1_391
; %bb.376:                              ;   in Loop: Header=BB1_92 Depth=1
	s_cmp_gt_u32 s48, 56
	s_mov_b32 s0, -1
	s_cbranch_scc0 .LBB1_386
; %bb.377:                              ;   in Loop: Header=BB1_92 Depth=1
	v_cmp_lt_i16_e64 s0, s48, 58
	s_delay_alu instid0(VALU_DEP_1)
	s_and_b32 vcc_lo, exec_lo, s0
	s_mov_b32 s0, -1
	s_cbranch_vccnz .LBB1_383
; %bb.378:                              ;   in Loop: Header=BB1_92 Depth=1
	v_cmp_ne_u16_e64 s0, s48, 58
	s_delay_alu instid0(VALU_DEP_1)
	s_and_b32 vcc_lo, exec_lo, s0
	s_mov_b32 s0, -1
	s_cbranch_vccz .LBB1_380
; %bb.379:                              ;   in Loop: Header=BB1_92 Depth=1
	v_mov_b32_e32 v31, v40
	s_add_u32 s8, s36, 0x1000
	s_addc_u32 s9, s37, 0
	s_mov_b64 s[4:5], s[38:39]
	s_mov_b64 s[10:11], s[34:35]
	s_mov_b32 s12, s41
	s_mov_b32 s13, s40
	;; [unrolled: 1-line block ×3, first 2 shown]
	s_getpc_b64 s[0:1]
	s_add_u32 s0, s0, _Z50ncclDevFunc_ReduceScatter_RING_LL_Sum_f8e4m3_0_0_2v@rel32@lo+4
	s_addc_u32 s1, s1, _Z50ncclDevFunc_ReduceScatter_RING_LL_Sum_f8e4m3_0_0_2v@rel32@hi+12
	s_delay_alu instid0(SALU_CYCLE_1)
	s_swappc_b64 s[30:31], s[0:1]
	s_mov_b32 s0, 0
.LBB1_380:                              ;   in Loop: Header=BB1_92 Depth=1
	s_delay_alu instid0(SALU_CYCLE_1)
	s_and_not1_b32 vcc_lo, exec_lo, s0
	s_cbranch_vccnz .LBB1_382
; %bb.381:                              ;   in Loop: Header=BB1_92 Depth=1
	v_mov_b32_e32 v31, v40
	s_add_u32 s8, s36, 0x1000
	s_addc_u32 s9, s37, 0
	s_mov_b64 s[4:5], s[38:39]
	s_mov_b64 s[10:11], s[34:35]
	s_mov_b32 s12, s41
	s_mov_b32 s13, s40
	;; [unrolled: 1-line block ×3, first 2 shown]
	s_getpc_b64 s[0:1]
	s_add_u32 s0, s0, _Z48ncclDevFunc_ReduceScatter_RING_LL_Sum_bf16_0_0_2v@rel32@lo+4
	s_addc_u32 s1, s1, _Z48ncclDevFunc_ReduceScatter_RING_LL_Sum_bf16_0_0_2v@rel32@hi+12
	s_delay_alu instid0(SALU_CYCLE_1)
	s_swappc_b64 s[30:31], s[0:1]
.LBB1_382:                              ;   in Loop: Header=BB1_92 Depth=1
	s_mov_b32 s0, 0
.LBB1_383:                              ;   in Loop: Header=BB1_92 Depth=1
	s_delay_alu instid0(SALU_CYCLE_1)
	s_and_not1_b32 vcc_lo, exec_lo, s0
	s_cbranch_vccnz .LBB1_385
; %bb.384:                              ;   in Loop: Header=BB1_92 Depth=1
	v_mov_b32_e32 v31, v40
	s_add_u32 s8, s36, 0x1000
	s_addc_u32 s9, s37, 0
	s_mov_b64 s[4:5], s[38:39]
	s_mov_b64 s[10:11], s[34:35]
	s_mov_b32 s12, s41
	s_mov_b32 s13, s40
	;; [unrolled: 1-line block ×3, first 2 shown]
	s_getpc_b64 s[0:1]
	s_add_u32 s0, s0, _Z47ncclDevFunc_ReduceScatter_RING_LL_Sum_f64_0_0_2v@rel32@lo+4
	s_addc_u32 s1, s1, _Z47ncclDevFunc_ReduceScatter_RING_LL_Sum_f64_0_0_2v@rel32@hi+12
	s_delay_alu instid0(SALU_CYCLE_1)
	s_swappc_b64 s[30:31], s[0:1]
.LBB1_385:                              ;   in Loop: Header=BB1_92 Depth=1
	s_mov_b32 s0, 0
.LBB1_386:                              ;   in Loop: Header=BB1_92 Depth=1
	s_delay_alu instid0(SALU_CYCLE_1)
	s_and_b32 vcc_lo, exec_lo, s0
	s_cbranch_vccz .LBB1_391
; %bb.387:                              ;   in Loop: Header=BB1_92 Depth=1
	s_cmp_eq_u32 s48, 56
	s_mov_b32 s0, -1
	s_cbranch_scc1 .LBB1_389
; %bb.388:                              ;   in Loop: Header=BB1_92 Depth=1
	v_mov_b32_e32 v31, v40
	s_add_u32 s8, s36, 0x1000
	s_addc_u32 s9, s37, 0
	s_mov_b64 s[4:5], s[38:39]
	s_mov_b64 s[10:11], s[34:35]
	s_mov_b32 s12, s41
	s_mov_b32 s13, s40
	;; [unrolled: 1-line block ×3, first 2 shown]
	s_getpc_b64 s[0:1]
	s_add_u32 s0, s0, _Z47ncclDevFunc_ReduceScatter_RING_LL_Sum_f16_0_0_2v@rel32@lo+4
	s_addc_u32 s1, s1, _Z47ncclDevFunc_ReduceScatter_RING_LL_Sum_f16_0_0_2v@rel32@hi+12
	s_delay_alu instid0(SALU_CYCLE_1)
	s_swappc_b64 s[30:31], s[0:1]
	s_mov_b32 s0, 0
.LBB1_389:                              ;   in Loop: Header=BB1_92 Depth=1
	s_delay_alu instid0(SALU_CYCLE_1)
	s_and_not1_b32 vcc_lo, exec_lo, s0
	s_cbranch_vccnz .LBB1_391
; %bb.390:                              ;   in Loop: Header=BB1_92 Depth=1
	v_mov_b32_e32 v31, v40
	s_add_u32 s8, s36, 0x1000
	s_addc_u32 s9, s37, 0
	s_mov_b64 s[4:5], s[38:39]
	s_mov_b64 s[10:11], s[34:35]
	s_mov_b32 s12, s41
	s_mov_b32 s13, s40
	;; [unrolled: 1-line block ×3, first 2 shown]
	s_getpc_b64 s[0:1]
	s_add_u32 s0, s0, _Z47ncclDevFunc_ReduceScatter_RING_LL_Sum_f32_0_0_2v@rel32@lo+4
	s_addc_u32 s1, s1, _Z47ncclDevFunc_ReduceScatter_RING_LL_Sum_f32_0_0_2v@rel32@hi+12
	s_delay_alu instid0(SALU_CYCLE_1)
	s_swappc_b64 s[30:31], s[0:1]
.LBB1_391:                              ;   in Loop: Header=BB1_92 Depth=1
	s_mov_b32 s0, 0
.LBB1_392:                              ;   in Loop: Header=BB1_92 Depth=1
	s_delay_alu instid0(SALU_CYCLE_1)
	s_and_not1_b32 vcc_lo, exec_lo, s0
	s_cbranch_vccnz .LBB1_422
; %bb.393:                              ;   in Loop: Header=BB1_92 Depth=1
	s_cmp_gt_u32 s48, 48
	s_mov_b32 s0, -1
	s_cbranch_scc0 .LBB1_410
; %bb.394:                              ;   in Loop: Header=BB1_92 Depth=1
	s_cmp_gt_u32 s48, 51
	s_cbranch_scc0 .LBB1_404
; %bb.395:                              ;   in Loop: Header=BB1_92 Depth=1
	v_cmp_lt_i16_e64 s0, s48, 53
	s_delay_alu instid0(VALU_DEP_1)
	s_and_b32 vcc_lo, exec_lo, s0
	s_mov_b32 s0, -1
	s_cbranch_vccnz .LBB1_401
; %bb.396:                              ;   in Loop: Header=BB1_92 Depth=1
	v_cmp_ne_u16_e64 s0, s48, 53
	s_delay_alu instid0(VALU_DEP_1)
	s_and_b32 vcc_lo, exec_lo, s0
	s_mov_b32 s0, -1
	s_cbranch_vccz .LBB1_398
; %bb.397:                              ;   in Loop: Header=BB1_92 Depth=1
	v_mov_b32_e32 v31, v40
	s_add_u32 s8, s36, 0x1000
	s_addc_u32 s9, s37, 0
	s_mov_b64 s[4:5], s[38:39]
	s_mov_b64 s[10:11], s[34:35]
	s_mov_b32 s12, s41
	s_mov_b32 s13, s40
	;; [unrolled: 1-line block ×3, first 2 shown]
	s_getpc_b64 s[0:1]
	s_add_u32 s0, s0, _Z47ncclDevFunc_ReduceScatter_RING_LL_Sum_u64_0_0_2v@rel32@lo+4
	s_addc_u32 s1, s1, _Z47ncclDevFunc_ReduceScatter_RING_LL_Sum_u64_0_0_2v@rel32@hi+12
	s_delay_alu instid0(SALU_CYCLE_1)
	s_swappc_b64 s[30:31], s[0:1]
	s_mov_b32 s0, 0
.LBB1_398:                              ;   in Loop: Header=BB1_92 Depth=1
	s_delay_alu instid0(SALU_CYCLE_1)
	s_and_not1_b32 vcc_lo, exec_lo, s0
	s_cbranch_vccnz .LBB1_400
; %bb.399:                              ;   in Loop: Header=BB1_92 Depth=1
	v_mov_b32_e32 v31, v40
	s_add_u32 s8, s36, 0x1000
	s_addc_u32 s9, s37, 0
	s_mov_b64 s[4:5], s[38:39]
	s_mov_b64 s[10:11], s[34:35]
	s_mov_b32 s12, s41
	s_mov_b32 s13, s40
	;; [unrolled: 1-line block ×3, first 2 shown]
	s_getpc_b64 s[0:1]
	s_add_u32 s0, s0, _Z47ncclDevFunc_ReduceScatter_RING_LL_Sum_u32_0_0_2v@rel32@lo+4
	s_addc_u32 s1, s1, _Z47ncclDevFunc_ReduceScatter_RING_LL_Sum_u32_0_0_2v@rel32@hi+12
	s_delay_alu instid0(SALU_CYCLE_1)
	s_swappc_b64 s[30:31], s[0:1]
.LBB1_400:                              ;   in Loop: Header=BB1_92 Depth=1
	s_mov_b32 s0, 0
.LBB1_401:                              ;   in Loop: Header=BB1_92 Depth=1
	s_delay_alu instid0(SALU_CYCLE_1)
	s_and_not1_b32 vcc_lo, exec_lo, s0
	s_cbranch_vccnz .LBB1_403
; %bb.402:                              ;   in Loop: Header=BB1_92 Depth=1
	v_mov_b32_e32 v31, v40
	s_add_u32 s8, s36, 0x1000
	s_addc_u32 s9, s37, 0
	s_mov_b64 s[4:5], s[38:39]
	s_mov_b64 s[10:11], s[34:35]
	s_mov_b32 s12, s41
	s_mov_b32 s13, s40
	;; [unrolled: 1-line block ×3, first 2 shown]
	s_getpc_b64 s[0:1]
	s_add_u32 s0, s0, _Z46ncclDevFunc_ReduceScatter_RING_LL_Sum_u8_0_0_2v@rel32@lo+4
	s_addc_u32 s1, s1, _Z46ncclDevFunc_ReduceScatter_RING_LL_Sum_u8_0_0_2v@rel32@hi+12
	s_delay_alu instid0(SALU_CYCLE_1)
	s_swappc_b64 s[30:31], s[0:1]
.LBB1_403:                              ;   in Loop: Header=BB1_92 Depth=1
	s_mov_b32 s0, 0
.LBB1_404:                              ;   in Loop: Header=BB1_92 Depth=1
	s_delay_alu instid0(SALU_CYCLE_1)
	s_and_b32 vcc_lo, exec_lo, s0
	s_cbranch_vccz .LBB1_409
; %bb.405:                              ;   in Loop: Header=BB1_92 Depth=1
	s_cmp_lg_u32 s48, 49
	s_mov_b32 s0, -1
	s_cbranch_scc0 .LBB1_407
; %bb.406:                              ;   in Loop: Header=BB1_92 Depth=1
	v_mov_b32_e32 v31, v40
	s_add_u32 s8, s36, 0x1000
	s_addc_u32 s9, s37, 0
	s_mov_b64 s[4:5], s[38:39]
	s_mov_b64 s[10:11], s[34:35]
	s_mov_b32 s12, s41
	s_mov_b32 s13, s40
	;; [unrolled: 1-line block ×3, first 2 shown]
	s_getpc_b64 s[0:1]
	s_add_u32 s0, s0, _Z45ncclDevFunc_AllGather_PAT_SIMPLE_Sum_i8_0_0_2v@rel32@lo+4
	s_addc_u32 s1, s1, _Z45ncclDevFunc_AllGather_PAT_SIMPLE_Sum_i8_0_0_2v@rel32@hi+12
	s_delay_alu instid0(SALU_CYCLE_1)
	s_swappc_b64 s[30:31], s[0:1]
	s_mov_b32 s0, 0
.LBB1_407:                              ;   in Loop: Header=BB1_92 Depth=1
	s_delay_alu instid0(SALU_CYCLE_1)
	s_and_not1_b32 vcc_lo, exec_lo, s0
	s_cbranch_vccnz .LBB1_409
; %bb.408:                              ;   in Loop: Header=BB1_92 Depth=1
	v_mov_b32_e32 v31, v40
	s_add_u32 s8, s36, 0x1000
	s_addc_u32 s9, s37, 0
	s_mov_b64 s[4:5], s[38:39]
	s_mov_b64 s[10:11], s[34:35]
	s_mov_b32 s12, s41
	s_mov_b32 s13, s40
	;; [unrolled: 1-line block ×3, first 2 shown]
	s_getpc_b64 s[0:1]
	s_add_u32 s0, s0, _Z41ncclDevFunc_AllGather_PAT_LL_Sum_i8_0_0_2v@rel32@lo+4
	s_addc_u32 s1, s1, _Z41ncclDevFunc_AllGather_PAT_LL_Sum_i8_0_0_2v@rel32@hi+12
	s_delay_alu instid0(SALU_CYCLE_1)
	s_swappc_b64 s[30:31], s[0:1]
.LBB1_409:                              ;   in Loop: Header=BB1_92 Depth=1
	s_mov_b32 s0, 0
.LBB1_410:                              ;   in Loop: Header=BB1_92 Depth=1
	s_delay_alu instid0(SALU_CYCLE_1)
	s_and_not1_b32 vcc_lo, exec_lo, s0
	s_cbranch_vccnz .LBB1_422
; %bb.411:                              ;   in Loop: Header=BB1_92 Depth=1
	s_cmp_gt_u32 s48, 45
	s_mov_b32 s0, -1
	s_cbranch_scc0 .LBB1_417
; %bb.412:                              ;   in Loop: Header=BB1_92 Depth=1
	s_cmp_lg_u32 s48, 46
	s_cbranch_scc0 .LBB1_414
; %bb.413:                              ;   in Loop: Header=BB1_92 Depth=1
	v_mov_b32_e32 v31, v40
	s_add_u32 s8, s36, 0x1000
	s_addc_u32 s9, s37, 0
	s_mov_b64 s[4:5], s[38:39]
	s_mov_b64 s[10:11], s[34:35]
	s_mov_b32 s12, s41
	s_mov_b32 s13, s40
	;; [unrolled: 1-line block ×3, first 2 shown]
	s_getpc_b64 s[0:1]
	s_add_u32 s0, s0, _Z46ncclDevFunc_AllGather_RING_SIMPLE_Sum_i8_0_0_2v@rel32@lo+4
	s_addc_u32 s1, s1, _Z46ncclDevFunc_AllGather_RING_SIMPLE_Sum_i8_0_0_2v@rel32@hi+12
	s_delay_alu instid0(SALU_CYCLE_1)
	s_swappc_b64 s[30:31], s[0:1]
	s_mov_b32 s0, 0
.LBB1_414:                              ;   in Loop: Header=BB1_92 Depth=1
	s_delay_alu instid0(SALU_CYCLE_1)
	s_and_not1_b32 vcc_lo, exec_lo, s0
	s_cbranch_vccnz .LBB1_416
; %bb.415:                              ;   in Loop: Header=BB1_92 Depth=1
	v_mov_b32_e32 v31, v40
	s_add_u32 s8, s36, 0x1000
	s_addc_u32 s9, s37, 0
	s_mov_b64 s[4:5], s[38:39]
	s_mov_b64 s[10:11], s[34:35]
	s_mov_b32 s12, s41
	s_mov_b32 s13, s40
	;; [unrolled: 1-line block ×3, first 2 shown]
	s_getpc_b64 s[0:1]
	s_add_u32 s0, s0, _Z42ncclDevFunc_AllGather_RING_LL_Sum_i8_0_0_2v@rel32@lo+4
	s_addc_u32 s1, s1, _Z42ncclDevFunc_AllGather_RING_LL_Sum_i8_0_0_2v@rel32@hi+12
	s_delay_alu instid0(SALU_CYCLE_1)
	s_swappc_b64 s[30:31], s[0:1]
.LBB1_416:                              ;   in Loop: Header=BB1_92 Depth=1
	s_mov_b32 s0, 0
.LBB1_417:                              ;   in Loop: Header=BB1_92 Depth=1
	s_delay_alu instid0(SALU_CYCLE_1)
	s_and_not1_b32 vcc_lo, exec_lo, s0
	s_cbranch_vccnz .LBB1_422
; %bb.418:                              ;   in Loop: Header=BB1_92 Depth=1
	s_cmp_eq_u32 s48, 45
	s_mov_b32 s0, -1
	s_cbranch_scc1 .LBB1_420
; %bb.419:                              ;   in Loop: Header=BB1_92 Depth=1
	v_mov_b32_e32 v31, v40
	s_add_u32 s8, s36, 0x1000
	s_addc_u32 s9, s37, 0
	s_mov_b64 s[4:5], s[38:39]
	s_mov_b64 s[10:11], s[34:35]
	s_mov_b32 s12, s41
	s_mov_b32 s13, s40
	;; [unrolled: 1-line block ×3, first 2 shown]
	s_getpc_b64 s[0:1]
	s_add_u32 s0, s0, _Z51ncclDevFunc_Reduce_RING_SIMPLE_SumPostDiv_u32_0_0_2v@rel32@lo+4
	s_addc_u32 s1, s1, _Z51ncclDevFunc_Reduce_RING_SIMPLE_SumPostDiv_u32_0_0_2v@rel32@hi+12
	s_delay_alu instid0(SALU_CYCLE_1)
	s_swappc_b64 s[30:31], s[0:1]
	s_mov_b32 s0, 0
.LBB1_420:                              ;   in Loop: Header=BB1_92 Depth=1
	s_delay_alu instid0(SALU_CYCLE_1)
	s_and_not1_b32 vcc_lo, exec_lo, s0
	s_cbranch_vccnz .LBB1_422
; %bb.421:                              ;   in Loop: Header=BB1_92 Depth=1
	v_mov_b32_e32 v31, v40
	s_add_u32 s8, s36, 0x1000
	s_addc_u32 s9, s37, 0
	s_mov_b64 s[4:5], s[38:39]
	s_mov_b64 s[10:11], s[34:35]
	s_mov_b32 s12, s41
	s_mov_b32 s13, s40
	;; [unrolled: 1-line block ×3, first 2 shown]
	s_getpc_b64 s[0:1]
	s_add_u32 s0, s0, _Z51ncclDevFunc_Reduce_RING_SIMPLE_SumPostDiv_u64_0_0_2v@rel32@lo+4
	s_addc_u32 s1, s1, _Z51ncclDevFunc_Reduce_RING_SIMPLE_SumPostDiv_u64_0_0_2v@rel32@hi+12
	s_delay_alu instid0(SALU_CYCLE_1)
	s_swappc_b64 s[30:31], s[0:1]
.LBB1_422:                              ;   in Loop: Header=BB1_92 Depth=1
	s_mov_b32 s0, 0
.LBB1_423:                              ;   in Loop: Header=BB1_92 Depth=1
	s_delay_alu instid0(SALU_CYCLE_1)
	s_and_not1_b32 vcc_lo, exec_lo, s0
	s_cbranch_vccnz .LBB1_578
; %bb.424:                              ;   in Loop: Header=BB1_92 Depth=1
	s_cmp_gt_u32 s48, 21
	s_mov_b32 s0, -1
	s_cbranch_scc0 .LBB1_503
; %bb.425:                              ;   in Loop: Header=BB1_92 Depth=1
	s_cmp_gt_u32 s48, 32
	s_cbranch_scc0 .LBB1_464
; %bb.426:                              ;   in Loop: Header=BB1_92 Depth=1
	s_cmp_gt_u32 s48, 37
	;; [unrolled: 3-line block ×3, first 2 shown]
	s_cbranch_scc0 .LBB1_437
; %bb.428:                              ;   in Loop: Header=BB1_92 Depth=1
	v_cmp_lt_i16_e64 s0, s48, 42
	s_delay_alu instid0(VALU_DEP_1)
	s_and_b32 vcc_lo, exec_lo, s0
	s_mov_b32 s0, -1
	s_cbranch_vccnz .LBB1_434
; %bb.429:                              ;   in Loop: Header=BB1_92 Depth=1
	v_cmp_ne_u16_e64 s0, s48, 42
	s_delay_alu instid0(VALU_DEP_1)
	s_and_b32 vcc_lo, exec_lo, s0
	s_mov_b32 s0, -1
	s_cbranch_vccz .LBB1_431
; %bb.430:                              ;   in Loop: Header=BB1_92 Depth=1
	v_mov_b32_e32 v31, v40
	s_add_u32 s8, s36, 0x1000
	s_addc_u32 s9, s37, 0
	s_mov_b64 s[4:5], s[38:39]
	s_mov_b64 s[10:11], s[34:35]
	s_mov_b32 s12, s41
	s_mov_b32 s13, s40
	;; [unrolled: 1-line block ×3, first 2 shown]
	s_getpc_b64 s[0:1]
	s_add_u32 s0, s0, _Z50ncclDevFunc_Reduce_RING_SIMPLE_SumPostDiv_u8_0_0_2v@rel32@lo+4
	s_addc_u32 s1, s1, _Z50ncclDevFunc_Reduce_RING_SIMPLE_SumPostDiv_u8_0_0_2v@rel32@hi+12
	s_delay_alu instid0(SALU_CYCLE_1)
	s_swappc_b64 s[30:31], s[0:1]
	s_mov_b32 s0, 0
.LBB1_431:                              ;   in Loop: Header=BB1_92 Depth=1
	s_delay_alu instid0(SALU_CYCLE_1)
	s_and_not1_b32 vcc_lo, exec_lo, s0
	s_cbranch_vccnz .LBB1_433
; %bb.432:                              ;   in Loop: Header=BB1_92 Depth=1
	v_mov_b32_e32 v31, v40
	s_add_u32 s8, s36, 0x1000
	s_addc_u32 s9, s37, 0
	s_mov_b64 s[4:5], s[38:39]
	s_mov_b64 s[10:11], s[34:35]
	s_mov_b32 s12, s41
	s_mov_b32 s13, s40
	;; [unrolled: 1-line block ×3, first 2 shown]
	s_getpc_b64 s[0:1]
	s_add_u32 s0, s0, _Z53ncclDevFunc_Reduce_RING_SIMPLE_PreMulSum_f8e5m2_0_0_2v@rel32@lo+4
	s_addc_u32 s1, s1, _Z53ncclDevFunc_Reduce_RING_SIMPLE_PreMulSum_f8e5m2_0_0_2v@rel32@hi+12
	s_delay_alu instid0(SALU_CYCLE_1)
	s_swappc_b64 s[30:31], s[0:1]
.LBB1_433:                              ;   in Loop: Header=BB1_92 Depth=1
	s_mov_b32 s0, 0
.LBB1_434:                              ;   in Loop: Header=BB1_92 Depth=1
	s_delay_alu instid0(SALU_CYCLE_1)
	s_and_not1_b32 vcc_lo, exec_lo, s0
	s_cbranch_vccnz .LBB1_436
; %bb.435:                              ;   in Loop: Header=BB1_92 Depth=1
	v_mov_b32_e32 v31, v40
	s_add_u32 s8, s36, 0x1000
	s_addc_u32 s9, s37, 0
	s_mov_b64 s[4:5], s[38:39]
	s_mov_b64 s[10:11], s[34:35]
	s_mov_b32 s12, s41
	s_mov_b32 s13, s40
	s_mov_b32 s14, s33
	s_getpc_b64 s[0:1]
	s_add_u32 s0, s0, _Z53ncclDevFunc_Reduce_RING_SIMPLE_PreMulSum_f8e4m3_0_0_2v@rel32@lo+4
	s_addc_u32 s1, s1, _Z53ncclDevFunc_Reduce_RING_SIMPLE_PreMulSum_f8e4m3_0_0_2v@rel32@hi+12
	s_delay_alu instid0(SALU_CYCLE_1)
	s_swappc_b64 s[30:31], s[0:1]
.LBB1_436:                              ;   in Loop: Header=BB1_92 Depth=1
	s_mov_b32 s0, 0
.LBB1_437:                              ;   in Loop: Header=BB1_92 Depth=1
	s_delay_alu instid0(SALU_CYCLE_1)
	s_and_b32 vcc_lo, exec_lo, s0
	s_cbranch_vccz .LBB1_446
; %bb.438:                              ;   in Loop: Header=BB1_92 Depth=1
	v_cmp_lt_i16_e64 s0, s48, 39
	s_delay_alu instid0(VALU_DEP_1)
	s_and_b32 vcc_lo, exec_lo, s0
	s_mov_b32 s0, -1
	s_cbranch_vccnz .LBB1_444
; %bb.439:                              ;   in Loop: Header=BB1_92 Depth=1
	v_cmp_ne_u16_e64 s0, s48, 39
	s_delay_alu instid0(VALU_DEP_1)
	s_and_b32 vcc_lo, exec_lo, s0
	s_mov_b32 s0, -1
	s_cbranch_vccz .LBB1_441
; %bb.440:                              ;   in Loop: Header=BB1_92 Depth=1
	v_mov_b32_e32 v31, v40
	s_add_u32 s8, s36, 0x1000
	s_addc_u32 s9, s37, 0
	s_mov_b64 s[4:5], s[38:39]
	s_mov_b64 s[10:11], s[34:35]
	s_mov_b32 s12, s41
	s_mov_b32 s13, s40
	s_mov_b32 s14, s33
	s_getpc_b64 s[0:1]
	s_add_u32 s0, s0, _Z51ncclDevFunc_Reduce_RING_SIMPLE_PreMulSum_bf16_0_1_2v@rel32@lo+4
	s_addc_u32 s1, s1, _Z51ncclDevFunc_Reduce_RING_SIMPLE_PreMulSum_bf16_0_1_2v@rel32@hi+12
	s_delay_alu instid0(SALU_CYCLE_1)
	s_swappc_b64 s[30:31], s[0:1]
	s_mov_b32 s0, 0
.LBB1_441:                              ;   in Loop: Header=BB1_92 Depth=1
	s_delay_alu instid0(SALU_CYCLE_1)
	s_and_not1_b32 vcc_lo, exec_lo, s0
	s_cbranch_vccnz .LBB1_443
; %bb.442:                              ;   in Loop: Header=BB1_92 Depth=1
	v_mov_b32_e32 v31, v40
	s_add_u32 s8, s36, 0x1000
	s_addc_u32 s9, s37, 0
	s_mov_b64 s[4:5], s[38:39]
	s_mov_b64 s[10:11], s[34:35]
	s_mov_b32 s12, s41
	s_mov_b32 s13, s40
	s_mov_b32 s14, s33
	s_getpc_b64 s[0:1]
	s_add_u32 s0, s0, _Z51ncclDevFunc_Reduce_RING_SIMPLE_PreMulSum_bf16_0_0_2v@rel32@lo+4
	s_addc_u32 s1, s1, _Z51ncclDevFunc_Reduce_RING_SIMPLE_PreMulSum_bf16_0_0_2v@rel32@hi+12
	s_delay_alu instid0(SALU_CYCLE_1)
	s_swappc_b64 s[30:31], s[0:1]
.LBB1_443:                              ;   in Loop: Header=BB1_92 Depth=1
	s_mov_b32 s0, 0
.LBB1_444:                              ;   in Loop: Header=BB1_92 Depth=1
	s_delay_alu instid0(SALU_CYCLE_1)
	s_and_not1_b32 vcc_lo, exec_lo, s0
	s_cbranch_vccnz .LBB1_446
; %bb.445:                              ;   in Loop: Header=BB1_92 Depth=1
	v_mov_b32_e32 v31, v40
	s_add_u32 s8, s36, 0x1000
	s_addc_u32 s9, s37, 0
	s_mov_b64 s[4:5], s[38:39]
	s_mov_b64 s[10:11], s[34:35]
	s_mov_b32 s12, s41
	s_mov_b32 s13, s40
	;; [unrolled: 1-line block ×3, first 2 shown]
	s_getpc_b64 s[0:1]
	s_add_u32 s0, s0, _Z50ncclDevFunc_Reduce_RING_SIMPLE_PreMulSum_f64_0_0_2v@rel32@lo+4
	s_addc_u32 s1, s1, _Z50ncclDevFunc_Reduce_RING_SIMPLE_PreMulSum_f64_0_0_2v@rel32@hi+12
	s_delay_alu instid0(SALU_CYCLE_1)
	s_swappc_b64 s[30:31], s[0:1]
.LBB1_446:                              ;   in Loop: Header=BB1_92 Depth=1
	s_mov_b32 s0, 0
.LBB1_447:                              ;   in Loop: Header=BB1_92 Depth=1
	s_delay_alu instid0(SALU_CYCLE_1)
	s_and_not1_b32 vcc_lo, exec_lo, s0
	s_cbranch_vccnz .LBB1_463
; %bb.448:                              ;   in Loop: Header=BB1_92 Depth=1
	s_cmp_gt_u32 s48, 34
	s_mov_b32 s0, -1
	s_cbranch_scc0 .LBB1_458
; %bb.449:                              ;   in Loop: Header=BB1_92 Depth=1
	v_cmp_lt_i16_e64 s0, s48, 36
	s_delay_alu instid0(VALU_DEP_1)
	s_and_b32 vcc_lo, exec_lo, s0
	s_mov_b32 s0, -1
	s_cbranch_vccnz .LBB1_455
; %bb.450:                              ;   in Loop: Header=BB1_92 Depth=1
	v_cmp_ne_u16_e64 s0, s48, 36
	s_delay_alu instid0(VALU_DEP_1)
	s_and_b32 vcc_lo, exec_lo, s0
	s_mov_b32 s0, -1
	s_cbranch_vccz .LBB1_452
; %bb.451:                              ;   in Loop: Header=BB1_92 Depth=1
	v_mov_b32_e32 v31, v40
	s_add_u32 s8, s36, 0x1000
	s_addc_u32 s9, s37, 0
	s_mov_b64 s[4:5], s[38:39]
	s_mov_b64 s[10:11], s[34:35]
	s_mov_b32 s12, s41
	s_mov_b32 s13, s40
	s_mov_b32 s14, s33
	s_getpc_b64 s[0:1]
	s_add_u32 s0, s0, _Z50ncclDevFunc_Reduce_RING_SIMPLE_PreMulSum_f32_0_0_2v@rel32@lo+4
	s_addc_u32 s1, s1, _Z50ncclDevFunc_Reduce_RING_SIMPLE_PreMulSum_f32_0_0_2v@rel32@hi+12
	s_delay_alu instid0(SALU_CYCLE_1)
	s_swappc_b64 s[30:31], s[0:1]
	s_mov_b32 s0, 0
.LBB1_452:                              ;   in Loop: Header=BB1_92 Depth=1
	s_delay_alu instid0(SALU_CYCLE_1)
	s_and_not1_b32 vcc_lo, exec_lo, s0
	s_cbranch_vccnz .LBB1_454
; %bb.453:                              ;   in Loop: Header=BB1_92 Depth=1
	v_mov_b32_e32 v31, v40
	s_add_u32 s8, s36, 0x1000
	s_addc_u32 s9, s37, 0
	s_mov_b64 s[4:5], s[38:39]
	s_mov_b64 s[10:11], s[34:35]
	s_mov_b32 s12, s41
	s_mov_b32 s13, s40
	;; [unrolled: 1-line block ×3, first 2 shown]
	s_getpc_b64 s[0:1]
	s_add_u32 s0, s0, _Z50ncclDevFunc_Reduce_RING_SIMPLE_PreMulSum_f16_0_0_2v@rel32@lo+4
	s_addc_u32 s1, s1, _Z50ncclDevFunc_Reduce_RING_SIMPLE_PreMulSum_f16_0_0_2v@rel32@hi+12
	s_delay_alu instid0(SALU_CYCLE_1)
	s_swappc_b64 s[30:31], s[0:1]
.LBB1_454:                              ;   in Loop: Header=BB1_92 Depth=1
	s_mov_b32 s0, 0
.LBB1_455:                              ;   in Loop: Header=BB1_92 Depth=1
	s_delay_alu instid0(SALU_CYCLE_1)
	s_and_not1_b32 vcc_lo, exec_lo, s0
	s_cbranch_vccnz .LBB1_457
; %bb.456:                              ;   in Loop: Header=BB1_92 Depth=1
	v_mov_b32_e32 v31, v40
	s_add_u32 s8, s36, 0x1000
	s_addc_u32 s9, s37, 0
	s_mov_b64 s[4:5], s[38:39]
	s_mov_b64 s[10:11], s[34:35]
	s_mov_b32 s12, s41
	s_mov_b32 s13, s40
	;; [unrolled: 1-line block ×3, first 2 shown]
	s_getpc_b64 s[0:1]
	s_add_u32 s0, s0, _Z50ncclDevFunc_Reduce_RING_SIMPLE_PreMulSum_u64_0_0_2v@rel32@lo+4
	s_addc_u32 s1, s1, _Z50ncclDevFunc_Reduce_RING_SIMPLE_PreMulSum_u64_0_0_2v@rel32@hi+12
	s_delay_alu instid0(SALU_CYCLE_1)
	s_swappc_b64 s[30:31], s[0:1]
.LBB1_457:                              ;   in Loop: Header=BB1_92 Depth=1
	s_mov_b32 s0, 0
.LBB1_458:                              ;   in Loop: Header=BB1_92 Depth=1
	s_delay_alu instid0(SALU_CYCLE_1)
	s_and_b32 vcc_lo, exec_lo, s0
	s_cbranch_vccz .LBB1_463
; %bb.459:                              ;   in Loop: Header=BB1_92 Depth=1
	s_cmp_eq_u32 s48, 34
	s_mov_b32 s0, -1
	s_cbranch_scc1 .LBB1_461
; %bb.460:                              ;   in Loop: Header=BB1_92 Depth=1
	v_mov_b32_e32 v31, v40
	s_add_u32 s8, s36, 0x1000
	s_addc_u32 s9, s37, 0
	s_mov_b64 s[4:5], s[38:39]
	s_mov_b64 s[10:11], s[34:35]
	s_mov_b32 s12, s41
	s_mov_b32 s13, s40
	;; [unrolled: 1-line block ×3, first 2 shown]
	s_getpc_b64 s[0:1]
	s_add_u32 s0, s0, _Z49ncclDevFunc_Reduce_RING_SIMPLE_PreMulSum_u8_0_0_2v@rel32@lo+4
	s_addc_u32 s1, s1, _Z49ncclDevFunc_Reduce_RING_SIMPLE_PreMulSum_u8_0_0_2v@rel32@hi+12
	s_delay_alu instid0(SALU_CYCLE_1)
	s_swappc_b64 s[30:31], s[0:1]
	s_mov_b32 s0, 0
.LBB1_461:                              ;   in Loop: Header=BB1_92 Depth=1
	s_delay_alu instid0(SALU_CYCLE_1)
	s_and_not1_b32 vcc_lo, exec_lo, s0
	s_cbranch_vccnz .LBB1_463
; %bb.462:                              ;   in Loop: Header=BB1_92 Depth=1
	v_mov_b32_e32 v31, v40
	s_add_u32 s8, s36, 0x1000
	s_addc_u32 s9, s37, 0
	s_mov_b64 s[4:5], s[38:39]
	s_mov_b64 s[10:11], s[34:35]
	s_mov_b32 s12, s41
	s_mov_b32 s13, s40
	;; [unrolled: 1-line block ×3, first 2 shown]
	s_getpc_b64 s[0:1]
	s_add_u32 s0, s0, _Z50ncclDevFunc_Reduce_RING_SIMPLE_PreMulSum_u32_0_0_2v@rel32@lo+4
	s_addc_u32 s1, s1, _Z50ncclDevFunc_Reduce_RING_SIMPLE_PreMulSum_u32_0_0_2v@rel32@hi+12
	s_delay_alu instid0(SALU_CYCLE_1)
	s_swappc_b64 s[30:31], s[0:1]
.LBB1_463:                              ;   in Loop: Header=BB1_92 Depth=1
	s_mov_b32 s0, 0
.LBB1_464:                              ;   in Loop: Header=BB1_92 Depth=1
	s_delay_alu instid0(SALU_CYCLE_1)
	s_and_not1_b32 vcc_lo, exec_lo, s0
	s_cbranch_vccnz .LBB1_502
; %bb.465:                              ;   in Loop: Header=BB1_92 Depth=1
	s_cmp_gt_u32 s48, 26
	s_mov_b32 s0, -1
	s_cbranch_scc0 .LBB1_486
; %bb.466:                              ;   in Loop: Header=BB1_92 Depth=1
	s_cmp_gt_u32 s48, 29
	s_cbranch_scc0 .LBB1_476
; %bb.467:                              ;   in Loop: Header=BB1_92 Depth=1
	v_cmp_lt_i16_e64 s0, s48, 31
	s_delay_alu instid0(VALU_DEP_1)
	s_and_b32 vcc_lo, exec_lo, s0
	s_mov_b32 s0, -1
	s_cbranch_vccnz .LBB1_473
; %bb.468:                              ;   in Loop: Header=BB1_92 Depth=1
	v_cmp_ne_u16_e64 s0, s48, 31
	s_delay_alu instid0(VALU_DEP_1)
	s_and_b32 vcc_lo, exec_lo, s0
	s_mov_b32 s0, -1
	s_cbranch_vccz .LBB1_470
; %bb.469:                              ;   in Loop: Header=BB1_92 Depth=1
	v_mov_b32_e32 v31, v40
	s_add_u32 s8, s36, 0x1000
	s_addc_u32 s9, s37, 0
	s_mov_b64 s[4:5], s[38:39]
	s_mov_b64 s[10:11], s[34:35]
	s_mov_b32 s12, s41
	s_mov_b32 s13, s40
	;; [unrolled: 1-line block ×3, first 2 shown]
	s_getpc_b64 s[0:1]
	s_add_u32 s0, s0, _Z50ncclDevFunc_Reduce_RING_SIMPLE_MinMax_f8e5m2_0_0_2v@rel32@lo+4
	s_addc_u32 s1, s1, _Z50ncclDevFunc_Reduce_RING_SIMPLE_MinMax_f8e5m2_0_0_2v@rel32@hi+12
	s_delay_alu instid0(SALU_CYCLE_1)
	s_swappc_b64 s[30:31], s[0:1]
	s_mov_b32 s0, 0
.LBB1_470:                              ;   in Loop: Header=BB1_92 Depth=1
	s_delay_alu instid0(SALU_CYCLE_1)
	s_and_not1_b32 vcc_lo, exec_lo, s0
	s_cbranch_vccnz .LBB1_472
; %bb.471:                              ;   in Loop: Header=BB1_92 Depth=1
	v_mov_b32_e32 v31, v40
	s_add_u32 s8, s36, 0x1000
	s_addc_u32 s9, s37, 0
	s_mov_b64 s[4:5], s[38:39]
	s_mov_b64 s[10:11], s[34:35]
	s_mov_b32 s12, s41
	s_mov_b32 s13, s40
	;; [unrolled: 1-line block ×3, first 2 shown]
	s_getpc_b64 s[0:1]
	s_add_u32 s0, s0, _Z50ncclDevFunc_Reduce_RING_SIMPLE_MinMax_f8e4m3_0_0_2v@rel32@lo+4
	s_addc_u32 s1, s1, _Z50ncclDevFunc_Reduce_RING_SIMPLE_MinMax_f8e4m3_0_0_2v@rel32@hi+12
	s_delay_alu instid0(SALU_CYCLE_1)
	s_swappc_b64 s[30:31], s[0:1]
.LBB1_472:                              ;   in Loop: Header=BB1_92 Depth=1
	s_mov_b32 s0, 0
.LBB1_473:                              ;   in Loop: Header=BB1_92 Depth=1
	s_delay_alu instid0(SALU_CYCLE_1)
	s_and_not1_b32 vcc_lo, exec_lo, s0
	s_cbranch_vccnz .LBB1_475
; %bb.474:                              ;   in Loop: Header=BB1_92 Depth=1
	v_mov_b32_e32 v31, v40
	s_add_u32 s8, s36, 0x1000
	s_addc_u32 s9, s37, 0
	s_mov_b64 s[4:5], s[38:39]
	s_mov_b64 s[10:11], s[34:35]
	s_mov_b32 s12, s41
	s_mov_b32 s13, s40
	;; [unrolled: 1-line block ×3, first 2 shown]
	s_getpc_b64 s[0:1]
	s_add_u32 s0, s0, _Z48ncclDevFunc_Reduce_RING_SIMPLE_MinMax_bf16_0_1_2v@rel32@lo+4
	s_addc_u32 s1, s1, _Z48ncclDevFunc_Reduce_RING_SIMPLE_MinMax_bf16_0_1_2v@rel32@hi+12
	s_delay_alu instid0(SALU_CYCLE_1)
	s_swappc_b64 s[30:31], s[0:1]
.LBB1_475:                              ;   in Loop: Header=BB1_92 Depth=1
	s_mov_b32 s0, 0
.LBB1_476:                              ;   in Loop: Header=BB1_92 Depth=1
	s_delay_alu instid0(SALU_CYCLE_1)
	s_and_b32 vcc_lo, exec_lo, s0
	s_cbranch_vccz .LBB1_485
; %bb.477:                              ;   in Loop: Header=BB1_92 Depth=1
	v_cmp_lt_i16_e64 s0, s48, 28
	s_delay_alu instid0(VALU_DEP_1)
	s_and_b32 vcc_lo, exec_lo, s0
	s_mov_b32 s0, -1
	s_cbranch_vccnz .LBB1_483
; %bb.478:                              ;   in Loop: Header=BB1_92 Depth=1
	v_cmp_ne_u16_e64 s0, s48, 28
	s_delay_alu instid0(VALU_DEP_1)
	s_and_b32 vcc_lo, exec_lo, s0
	s_mov_b32 s0, -1
	s_cbranch_vccz .LBB1_480
; %bb.479:                              ;   in Loop: Header=BB1_92 Depth=1
	v_mov_b32_e32 v31, v40
	s_add_u32 s8, s36, 0x1000
	s_addc_u32 s9, s37, 0
	s_mov_b64 s[4:5], s[38:39]
	s_mov_b64 s[10:11], s[34:35]
	s_mov_b32 s12, s41
	s_mov_b32 s13, s40
	;; [unrolled: 1-line block ×3, first 2 shown]
	s_getpc_b64 s[0:1]
	s_add_u32 s0, s0, _Z48ncclDevFunc_Reduce_RING_SIMPLE_MinMax_bf16_0_0_2v@rel32@lo+4
	s_addc_u32 s1, s1, _Z48ncclDevFunc_Reduce_RING_SIMPLE_MinMax_bf16_0_0_2v@rel32@hi+12
	s_delay_alu instid0(SALU_CYCLE_1)
	s_swappc_b64 s[30:31], s[0:1]
	s_mov_b32 s0, 0
.LBB1_480:                              ;   in Loop: Header=BB1_92 Depth=1
	s_delay_alu instid0(SALU_CYCLE_1)
	s_and_not1_b32 vcc_lo, exec_lo, s0
	s_cbranch_vccnz .LBB1_482
; %bb.481:                              ;   in Loop: Header=BB1_92 Depth=1
	v_mov_b32_e32 v31, v40
	s_add_u32 s8, s36, 0x1000
	s_addc_u32 s9, s37, 0
	s_mov_b64 s[4:5], s[38:39]
	s_mov_b64 s[10:11], s[34:35]
	s_mov_b32 s12, s41
	s_mov_b32 s13, s40
	;; [unrolled: 1-line block ×3, first 2 shown]
	s_getpc_b64 s[0:1]
	s_add_u32 s0, s0, _Z47ncclDevFunc_Reduce_RING_SIMPLE_MinMax_f64_0_0_2v@rel32@lo+4
	s_addc_u32 s1, s1, _Z47ncclDevFunc_Reduce_RING_SIMPLE_MinMax_f64_0_0_2v@rel32@hi+12
	s_delay_alu instid0(SALU_CYCLE_1)
	s_swappc_b64 s[30:31], s[0:1]
.LBB1_482:                              ;   in Loop: Header=BB1_92 Depth=1
	s_mov_b32 s0, 0
.LBB1_483:                              ;   in Loop: Header=BB1_92 Depth=1
	s_delay_alu instid0(SALU_CYCLE_1)
	s_and_not1_b32 vcc_lo, exec_lo, s0
	s_cbranch_vccnz .LBB1_485
; %bb.484:                              ;   in Loop: Header=BB1_92 Depth=1
	v_mov_b32_e32 v31, v40
	s_add_u32 s8, s36, 0x1000
	s_addc_u32 s9, s37, 0
	s_mov_b64 s[4:5], s[38:39]
	s_mov_b64 s[10:11], s[34:35]
	s_mov_b32 s12, s41
	s_mov_b32 s13, s40
	;; [unrolled: 1-line block ×3, first 2 shown]
	s_getpc_b64 s[0:1]
	s_add_u32 s0, s0, _Z47ncclDevFunc_Reduce_RING_SIMPLE_MinMax_f32_0_0_2v@rel32@lo+4
	s_addc_u32 s1, s1, _Z47ncclDevFunc_Reduce_RING_SIMPLE_MinMax_f32_0_0_2v@rel32@hi+12
	s_delay_alu instid0(SALU_CYCLE_1)
	s_swappc_b64 s[30:31], s[0:1]
.LBB1_485:                              ;   in Loop: Header=BB1_92 Depth=1
	s_mov_b32 s0, 0
.LBB1_486:                              ;   in Loop: Header=BB1_92 Depth=1
	s_delay_alu instid0(SALU_CYCLE_1)
	s_and_not1_b32 vcc_lo, exec_lo, s0
	s_cbranch_vccnz .LBB1_502
; %bb.487:                              ;   in Loop: Header=BB1_92 Depth=1
	s_cmp_gt_u32 s48, 23
	s_mov_b32 s0, -1
	s_cbranch_scc0 .LBB1_497
; %bb.488:                              ;   in Loop: Header=BB1_92 Depth=1
	v_cmp_lt_i16_e64 s0, s48, 25
	s_delay_alu instid0(VALU_DEP_1)
	s_and_b32 vcc_lo, exec_lo, s0
	s_mov_b32 s0, -1
	s_cbranch_vccnz .LBB1_494
; %bb.489:                              ;   in Loop: Header=BB1_92 Depth=1
	v_cmp_ne_u16_e64 s0, s48, 25
	s_delay_alu instid0(VALU_DEP_1)
	s_and_b32 vcc_lo, exec_lo, s0
	s_mov_b32 s0, -1
	s_cbranch_vccz .LBB1_491
; %bb.490:                              ;   in Loop: Header=BB1_92 Depth=1
	v_mov_b32_e32 v31, v40
	s_add_u32 s8, s36, 0x1000
	s_addc_u32 s9, s37, 0
	s_mov_b64 s[4:5], s[38:39]
	s_mov_b64 s[10:11], s[34:35]
	s_mov_b32 s12, s41
	s_mov_b32 s13, s40
	;; [unrolled: 1-line block ×3, first 2 shown]
	s_getpc_b64 s[0:1]
	s_add_u32 s0, s0, _Z47ncclDevFunc_Reduce_RING_SIMPLE_MinMax_f16_0_0_2v@rel32@lo+4
	s_addc_u32 s1, s1, _Z47ncclDevFunc_Reduce_RING_SIMPLE_MinMax_f16_0_0_2v@rel32@hi+12
	s_delay_alu instid0(SALU_CYCLE_1)
	s_swappc_b64 s[30:31], s[0:1]
	s_mov_b32 s0, 0
.LBB1_491:                              ;   in Loop: Header=BB1_92 Depth=1
	s_delay_alu instid0(SALU_CYCLE_1)
	s_and_not1_b32 vcc_lo, exec_lo, s0
	s_cbranch_vccnz .LBB1_493
; %bb.492:                              ;   in Loop: Header=BB1_92 Depth=1
	v_mov_b32_e32 v31, v40
	s_add_u32 s8, s36, 0x1000
	s_addc_u32 s9, s37, 0
	s_mov_b64 s[4:5], s[38:39]
	s_mov_b64 s[10:11], s[34:35]
	s_mov_b32 s12, s41
	s_mov_b32 s13, s40
	;; [unrolled: 1-line block ×3, first 2 shown]
	s_getpc_b64 s[0:1]
	s_add_u32 s0, s0, _Z47ncclDevFunc_Reduce_RING_SIMPLE_MinMax_u64_0_0_2v@rel32@lo+4
	s_addc_u32 s1, s1, _Z47ncclDevFunc_Reduce_RING_SIMPLE_MinMax_u64_0_0_2v@rel32@hi+12
	s_delay_alu instid0(SALU_CYCLE_1)
	s_swappc_b64 s[30:31], s[0:1]
.LBB1_493:                              ;   in Loop: Header=BB1_92 Depth=1
	s_mov_b32 s0, 0
.LBB1_494:                              ;   in Loop: Header=BB1_92 Depth=1
	s_delay_alu instid0(SALU_CYCLE_1)
	s_and_not1_b32 vcc_lo, exec_lo, s0
	s_cbranch_vccnz .LBB1_496
; %bb.495:                              ;   in Loop: Header=BB1_92 Depth=1
	v_mov_b32_e32 v31, v40
	s_add_u32 s8, s36, 0x1000
	s_addc_u32 s9, s37, 0
	s_mov_b64 s[4:5], s[38:39]
	s_mov_b64 s[10:11], s[34:35]
	s_mov_b32 s12, s41
	s_mov_b32 s13, s40
	;; [unrolled: 1-line block ×3, first 2 shown]
	s_getpc_b64 s[0:1]
	s_add_u32 s0, s0, _Z47ncclDevFunc_Reduce_RING_SIMPLE_MinMax_u32_0_0_2v@rel32@lo+4
	s_addc_u32 s1, s1, _Z47ncclDevFunc_Reduce_RING_SIMPLE_MinMax_u32_0_0_2v@rel32@hi+12
	s_delay_alu instid0(SALU_CYCLE_1)
	s_swappc_b64 s[30:31], s[0:1]
.LBB1_496:                              ;   in Loop: Header=BB1_92 Depth=1
	s_mov_b32 s0, 0
.LBB1_497:                              ;   in Loop: Header=BB1_92 Depth=1
	s_delay_alu instid0(SALU_CYCLE_1)
	s_and_b32 vcc_lo, exec_lo, s0
	s_cbranch_vccz .LBB1_502
; %bb.498:                              ;   in Loop: Header=BB1_92 Depth=1
	s_cmp_eq_u32 s48, 23
	s_mov_b32 s0, -1
	s_cbranch_scc1 .LBB1_500
; %bb.499:                              ;   in Loop: Header=BB1_92 Depth=1
	v_mov_b32_e32 v31, v40
	s_add_u32 s8, s36, 0x1000
	s_addc_u32 s9, s37, 0
	s_mov_b64 s[4:5], s[38:39]
	s_mov_b64 s[10:11], s[34:35]
	s_mov_b32 s12, s41
	s_mov_b32 s13, s40
	;; [unrolled: 1-line block ×3, first 2 shown]
	s_getpc_b64 s[0:1]
	s_add_u32 s0, s0, _Z48ncclDevFunc_Reduce_RING_SIMPLE_Prod_f8e5m2_0_0_2v@rel32@lo+4
	s_addc_u32 s1, s1, _Z48ncclDevFunc_Reduce_RING_SIMPLE_Prod_f8e5m2_0_0_2v@rel32@hi+12
	s_delay_alu instid0(SALU_CYCLE_1)
	s_swappc_b64 s[30:31], s[0:1]
	s_mov_b32 s0, 0
.LBB1_500:                              ;   in Loop: Header=BB1_92 Depth=1
	s_delay_alu instid0(SALU_CYCLE_1)
	s_and_not1_b32 vcc_lo, exec_lo, s0
	s_cbranch_vccnz .LBB1_502
; %bb.501:                              ;   in Loop: Header=BB1_92 Depth=1
	v_mov_b32_e32 v31, v40
	s_add_u32 s8, s36, 0x1000
	s_addc_u32 s9, s37, 0
	s_mov_b64 s[4:5], s[38:39]
	s_mov_b64 s[10:11], s[34:35]
	s_mov_b32 s12, s41
	s_mov_b32 s13, s40
	;; [unrolled: 1-line block ×3, first 2 shown]
	s_getpc_b64 s[0:1]
	s_add_u32 s0, s0, _Z46ncclDevFunc_Reduce_RING_SIMPLE_MinMax_u8_0_0_2v@rel32@lo+4
	s_addc_u32 s1, s1, _Z46ncclDevFunc_Reduce_RING_SIMPLE_MinMax_u8_0_0_2v@rel32@hi+12
	s_delay_alu instid0(SALU_CYCLE_1)
	s_swappc_b64 s[30:31], s[0:1]
.LBB1_502:                              ;   in Loop: Header=BB1_92 Depth=1
	s_mov_b32 s0, 0
.LBB1_503:                              ;   in Loop: Header=BB1_92 Depth=1
	s_delay_alu instid0(SALU_CYCLE_1)
	s_and_not1_b32 vcc_lo, exec_lo, s0
	s_cbranch_vccnz .LBB1_578
; %bb.504:                              ;   in Loop: Header=BB1_92 Depth=1
	s_cmp_gt_u32 s48, 10
	s_mov_b32 s0, -1
	s_cbranch_scc0 .LBB1_543
; %bb.505:                              ;   in Loop: Header=BB1_92 Depth=1
	s_cmp_gt_u32 s48, 15
	s_cbranch_scc0 .LBB1_526
; %bb.506:                              ;   in Loop: Header=BB1_92 Depth=1
	s_cmp_gt_u32 s48, 18
	s_cbranch_scc0 .LBB1_516
; %bb.507:                              ;   in Loop: Header=BB1_92 Depth=1
	v_cmp_lt_i16_e64 s0, s48, 20
	s_delay_alu instid0(VALU_DEP_1)
	s_and_b32 vcc_lo, exec_lo, s0
	s_mov_b32 s0, -1
	s_cbranch_vccnz .LBB1_513
; %bb.508:                              ;   in Loop: Header=BB1_92 Depth=1
	v_cmp_ne_u16_e64 s0, s48, 20
	s_delay_alu instid0(VALU_DEP_1)
	s_and_b32 vcc_lo, exec_lo, s0
	s_mov_b32 s0, -1
	s_cbranch_vccz .LBB1_510
; %bb.509:                              ;   in Loop: Header=BB1_92 Depth=1
	v_mov_b32_e32 v31, v40
	s_add_u32 s8, s36, 0x1000
	s_addc_u32 s9, s37, 0
	s_mov_b64 s[4:5], s[38:39]
	s_mov_b64 s[10:11], s[34:35]
	s_mov_b32 s12, s41
	s_mov_b32 s13, s40
	;; [unrolled: 1-line block ×3, first 2 shown]
	s_getpc_b64 s[0:1]
	s_add_u32 s0, s0, _Z48ncclDevFunc_Reduce_RING_SIMPLE_Prod_f8e4m3_0_0_2v@rel32@lo+4
	s_addc_u32 s1, s1, _Z48ncclDevFunc_Reduce_RING_SIMPLE_Prod_f8e4m3_0_0_2v@rel32@hi+12
	s_delay_alu instid0(SALU_CYCLE_1)
	s_swappc_b64 s[30:31], s[0:1]
	s_mov_b32 s0, 0
.LBB1_510:                              ;   in Loop: Header=BB1_92 Depth=1
	s_delay_alu instid0(SALU_CYCLE_1)
	s_and_not1_b32 vcc_lo, exec_lo, s0
	s_cbranch_vccnz .LBB1_512
; %bb.511:                              ;   in Loop: Header=BB1_92 Depth=1
	v_mov_b32_e32 v31, v40
	s_add_u32 s8, s36, 0x1000
	s_addc_u32 s9, s37, 0
	s_mov_b64 s[4:5], s[38:39]
	s_mov_b64 s[10:11], s[34:35]
	s_mov_b32 s12, s41
	s_mov_b32 s13, s40
	;; [unrolled: 1-line block ×3, first 2 shown]
	s_getpc_b64 s[0:1]
	s_add_u32 s0, s0, _Z46ncclDevFunc_Reduce_RING_SIMPLE_Prod_bf16_0_1_2v@rel32@lo+4
	s_addc_u32 s1, s1, _Z46ncclDevFunc_Reduce_RING_SIMPLE_Prod_bf16_0_1_2v@rel32@hi+12
	s_delay_alu instid0(SALU_CYCLE_1)
	s_swappc_b64 s[30:31], s[0:1]
.LBB1_512:                              ;   in Loop: Header=BB1_92 Depth=1
	s_mov_b32 s0, 0
.LBB1_513:                              ;   in Loop: Header=BB1_92 Depth=1
	s_delay_alu instid0(SALU_CYCLE_1)
	s_and_not1_b32 vcc_lo, exec_lo, s0
	s_cbranch_vccnz .LBB1_515
; %bb.514:                              ;   in Loop: Header=BB1_92 Depth=1
	v_mov_b32_e32 v31, v40
	s_add_u32 s8, s36, 0x1000
	s_addc_u32 s9, s37, 0
	s_mov_b64 s[4:5], s[38:39]
	s_mov_b64 s[10:11], s[34:35]
	s_mov_b32 s12, s41
	s_mov_b32 s13, s40
	;; [unrolled: 1-line block ×3, first 2 shown]
	s_getpc_b64 s[0:1]
	s_add_u32 s0, s0, _Z46ncclDevFunc_Reduce_RING_SIMPLE_Prod_bf16_0_0_2v@rel32@lo+4
	s_addc_u32 s1, s1, _Z46ncclDevFunc_Reduce_RING_SIMPLE_Prod_bf16_0_0_2v@rel32@hi+12
	s_delay_alu instid0(SALU_CYCLE_1)
	s_swappc_b64 s[30:31], s[0:1]
.LBB1_515:                              ;   in Loop: Header=BB1_92 Depth=1
	s_mov_b32 s0, 0
.LBB1_516:                              ;   in Loop: Header=BB1_92 Depth=1
	s_delay_alu instid0(SALU_CYCLE_1)
	s_and_b32 vcc_lo, exec_lo, s0
	s_cbranch_vccz .LBB1_525
; %bb.517:                              ;   in Loop: Header=BB1_92 Depth=1
	v_cmp_lt_i16_e64 s0, s48, 17
	s_delay_alu instid0(VALU_DEP_1)
	s_and_b32 vcc_lo, exec_lo, s0
	s_mov_b32 s0, -1
	s_cbranch_vccnz .LBB1_523
; %bb.518:                              ;   in Loop: Header=BB1_92 Depth=1
	v_cmp_ne_u16_e64 s0, s48, 17
	s_delay_alu instid0(VALU_DEP_1)
	s_and_b32 vcc_lo, exec_lo, s0
	s_mov_b32 s0, -1
	s_cbranch_vccz .LBB1_520
; %bb.519:                              ;   in Loop: Header=BB1_92 Depth=1
	v_mov_b32_e32 v31, v40
	s_add_u32 s8, s36, 0x1000
	s_addc_u32 s9, s37, 0
	s_mov_b64 s[4:5], s[38:39]
	s_mov_b64 s[10:11], s[34:35]
	s_mov_b32 s12, s41
	s_mov_b32 s13, s40
	;; [unrolled: 1-line block ×3, first 2 shown]
	s_getpc_b64 s[0:1]
	s_add_u32 s0, s0, _Z45ncclDevFunc_Reduce_RING_SIMPLE_Prod_f64_0_0_2v@rel32@lo+4
	s_addc_u32 s1, s1, _Z45ncclDevFunc_Reduce_RING_SIMPLE_Prod_f64_0_0_2v@rel32@hi+12
	s_delay_alu instid0(SALU_CYCLE_1)
	s_swappc_b64 s[30:31], s[0:1]
	s_mov_b32 s0, 0
.LBB1_520:                              ;   in Loop: Header=BB1_92 Depth=1
	s_delay_alu instid0(SALU_CYCLE_1)
	s_and_not1_b32 vcc_lo, exec_lo, s0
	s_cbranch_vccnz .LBB1_522
; %bb.521:                              ;   in Loop: Header=BB1_92 Depth=1
	v_mov_b32_e32 v31, v40
	s_add_u32 s8, s36, 0x1000
	s_addc_u32 s9, s37, 0
	s_mov_b64 s[4:5], s[38:39]
	s_mov_b64 s[10:11], s[34:35]
	s_mov_b32 s12, s41
	s_mov_b32 s13, s40
	;; [unrolled: 1-line block ×3, first 2 shown]
	s_getpc_b64 s[0:1]
	s_add_u32 s0, s0, _Z45ncclDevFunc_Reduce_RING_SIMPLE_Prod_f32_0_0_2v@rel32@lo+4
	s_addc_u32 s1, s1, _Z45ncclDevFunc_Reduce_RING_SIMPLE_Prod_f32_0_0_2v@rel32@hi+12
	s_delay_alu instid0(SALU_CYCLE_1)
	s_swappc_b64 s[30:31], s[0:1]
.LBB1_522:                              ;   in Loop: Header=BB1_92 Depth=1
	s_mov_b32 s0, 0
.LBB1_523:                              ;   in Loop: Header=BB1_92 Depth=1
	s_delay_alu instid0(SALU_CYCLE_1)
	s_and_not1_b32 vcc_lo, exec_lo, s0
	s_cbranch_vccnz .LBB1_525
; %bb.524:                              ;   in Loop: Header=BB1_92 Depth=1
	v_mov_b32_e32 v31, v40
	s_add_u32 s8, s36, 0x1000
	s_addc_u32 s9, s37, 0
	s_mov_b64 s[4:5], s[38:39]
	s_mov_b64 s[10:11], s[34:35]
	s_mov_b32 s12, s41
	s_mov_b32 s13, s40
	;; [unrolled: 1-line block ×3, first 2 shown]
	s_getpc_b64 s[0:1]
	s_add_u32 s0, s0, _Z45ncclDevFunc_Reduce_RING_SIMPLE_Prod_f16_0_0_2v@rel32@lo+4
	s_addc_u32 s1, s1, _Z45ncclDevFunc_Reduce_RING_SIMPLE_Prod_f16_0_0_2v@rel32@hi+12
	s_delay_alu instid0(SALU_CYCLE_1)
	s_swappc_b64 s[30:31], s[0:1]
.LBB1_525:                              ;   in Loop: Header=BB1_92 Depth=1
	s_mov_b32 s0, 0
.LBB1_526:                              ;   in Loop: Header=BB1_92 Depth=1
	s_delay_alu instid0(SALU_CYCLE_1)
	s_and_not1_b32 vcc_lo, exec_lo, s0
	s_cbranch_vccnz .LBB1_542
; %bb.527:                              ;   in Loop: Header=BB1_92 Depth=1
	s_cmp_gt_u32 s48, 12
	s_mov_b32 s0, -1
	s_cbranch_scc0 .LBB1_537
; %bb.528:                              ;   in Loop: Header=BB1_92 Depth=1
	v_cmp_lt_i16_e64 s0, s48, 14
	s_delay_alu instid0(VALU_DEP_1)
	s_and_b32 vcc_lo, exec_lo, s0
	s_mov_b32 s0, -1
	s_cbranch_vccnz .LBB1_534
; %bb.529:                              ;   in Loop: Header=BB1_92 Depth=1
	v_cmp_ne_u16_e64 s0, s48, 14
	s_delay_alu instid0(VALU_DEP_1)
	s_and_b32 vcc_lo, exec_lo, s0
	s_mov_b32 s0, -1
	s_cbranch_vccz .LBB1_531
; %bb.530:                              ;   in Loop: Header=BB1_92 Depth=1
	v_mov_b32_e32 v31, v40
	s_add_u32 s8, s36, 0x1000
	s_addc_u32 s9, s37, 0
	s_mov_b64 s[4:5], s[38:39]
	s_mov_b64 s[10:11], s[34:35]
	s_mov_b32 s12, s41
	s_mov_b32 s13, s40
	;; [unrolled: 1-line block ×3, first 2 shown]
	s_getpc_b64 s[0:1]
	s_add_u32 s0, s0, _Z45ncclDevFunc_Reduce_RING_SIMPLE_Prod_u64_0_0_2v@rel32@lo+4
	s_addc_u32 s1, s1, _Z45ncclDevFunc_Reduce_RING_SIMPLE_Prod_u64_0_0_2v@rel32@hi+12
	s_delay_alu instid0(SALU_CYCLE_1)
	s_swappc_b64 s[30:31], s[0:1]
	s_mov_b32 s0, 0
.LBB1_531:                              ;   in Loop: Header=BB1_92 Depth=1
	s_delay_alu instid0(SALU_CYCLE_1)
	s_and_not1_b32 vcc_lo, exec_lo, s0
	s_cbranch_vccnz .LBB1_533
; %bb.532:                              ;   in Loop: Header=BB1_92 Depth=1
	v_mov_b32_e32 v31, v40
	s_add_u32 s8, s36, 0x1000
	s_addc_u32 s9, s37, 0
	s_mov_b64 s[4:5], s[38:39]
	s_mov_b64 s[10:11], s[34:35]
	s_mov_b32 s12, s41
	s_mov_b32 s13, s40
	;; [unrolled: 1-line block ×3, first 2 shown]
	s_getpc_b64 s[0:1]
	s_add_u32 s0, s0, _Z45ncclDevFunc_Reduce_RING_SIMPLE_Prod_u32_0_0_2v@rel32@lo+4
	s_addc_u32 s1, s1, _Z45ncclDevFunc_Reduce_RING_SIMPLE_Prod_u32_0_0_2v@rel32@hi+12
	s_delay_alu instid0(SALU_CYCLE_1)
	s_swappc_b64 s[30:31], s[0:1]
.LBB1_533:                              ;   in Loop: Header=BB1_92 Depth=1
	s_mov_b32 s0, 0
.LBB1_534:                              ;   in Loop: Header=BB1_92 Depth=1
	s_delay_alu instid0(SALU_CYCLE_1)
	s_and_not1_b32 vcc_lo, exec_lo, s0
	s_cbranch_vccnz .LBB1_536
; %bb.535:                              ;   in Loop: Header=BB1_92 Depth=1
	v_mov_b32_e32 v31, v40
	s_add_u32 s8, s36, 0x1000
	s_addc_u32 s9, s37, 0
	s_mov_b64 s[4:5], s[38:39]
	s_mov_b64 s[10:11], s[34:35]
	s_mov_b32 s12, s41
	s_mov_b32 s13, s40
	;; [unrolled: 1-line block ×3, first 2 shown]
	s_getpc_b64 s[0:1]
	s_add_u32 s0, s0, _Z44ncclDevFunc_Reduce_RING_SIMPLE_Prod_u8_0_0_2v@rel32@lo+4
	s_addc_u32 s1, s1, _Z44ncclDevFunc_Reduce_RING_SIMPLE_Prod_u8_0_0_2v@rel32@hi+12
	s_delay_alu instid0(SALU_CYCLE_1)
	s_swappc_b64 s[30:31], s[0:1]
.LBB1_536:                              ;   in Loop: Header=BB1_92 Depth=1
	s_mov_b32 s0, 0
.LBB1_537:                              ;   in Loop: Header=BB1_92 Depth=1
	s_delay_alu instid0(SALU_CYCLE_1)
	s_and_b32 vcc_lo, exec_lo, s0
	s_cbranch_vccz .LBB1_542
; %bb.538:                              ;   in Loop: Header=BB1_92 Depth=1
	s_cmp_eq_u32 s48, 12
	s_mov_b32 s0, -1
	s_cbranch_scc1 .LBB1_540
; %bb.539:                              ;   in Loop: Header=BB1_92 Depth=1
	v_mov_b32_e32 v31, v40
	s_add_u32 s8, s36, 0x1000
	s_addc_u32 s9, s37, 0
	s_mov_b64 s[4:5], s[38:39]
	s_mov_b64 s[10:11], s[34:35]
	s_mov_b32 s12, s41
	s_mov_b32 s13, s40
	;; [unrolled: 1-line block ×3, first 2 shown]
	s_getpc_b64 s[0:1]
	s_add_u32 s0, s0, _Z47ncclDevFunc_Reduce_RING_SIMPLE_Sum_f8e4m3_0_0_2v@rel32@lo+4
	s_addc_u32 s1, s1, _Z47ncclDevFunc_Reduce_RING_SIMPLE_Sum_f8e4m3_0_0_2v@rel32@hi+12
	s_delay_alu instid0(SALU_CYCLE_1)
	s_swappc_b64 s[30:31], s[0:1]
	s_mov_b32 s0, 0
.LBB1_540:                              ;   in Loop: Header=BB1_92 Depth=1
	s_delay_alu instid0(SALU_CYCLE_1)
	s_and_not1_b32 vcc_lo, exec_lo, s0
	s_cbranch_vccnz .LBB1_542
; %bb.541:                              ;   in Loop: Header=BB1_92 Depth=1
	v_mov_b32_e32 v31, v40
	s_add_u32 s8, s36, 0x1000
	s_addc_u32 s9, s37, 0
	s_mov_b64 s[4:5], s[38:39]
	s_mov_b64 s[10:11], s[34:35]
	s_mov_b32 s12, s41
	s_mov_b32 s13, s40
	;; [unrolled: 1-line block ×3, first 2 shown]
	s_getpc_b64 s[0:1]
	s_add_u32 s0, s0, _Z47ncclDevFunc_Reduce_RING_SIMPLE_Sum_f8e5m2_0_0_2v@rel32@lo+4
	s_addc_u32 s1, s1, _Z47ncclDevFunc_Reduce_RING_SIMPLE_Sum_f8e5m2_0_0_2v@rel32@hi+12
	s_delay_alu instid0(SALU_CYCLE_1)
	s_swappc_b64 s[30:31], s[0:1]
.LBB1_542:                              ;   in Loop: Header=BB1_92 Depth=1
	s_mov_b32 s0, 0
.LBB1_543:                              ;   in Loop: Header=BB1_92 Depth=1
	s_delay_alu instid0(SALU_CYCLE_1)
	s_and_not1_b32 vcc_lo, exec_lo, s0
	s_cbranch_vccnz .LBB1_578
; %bb.544:                              ;   in Loop: Header=BB1_92 Depth=1
	s_cmp_gt_u32 s48, 4
	s_mov_b32 s0, -1
	s_cbranch_scc0 .LBB1_565
; %bb.545:                              ;   in Loop: Header=BB1_92 Depth=1
	s_cmp_gt_u32 s48, 7
	s_cbranch_scc0 .LBB1_555
; %bb.546:                              ;   in Loop: Header=BB1_92 Depth=1
	v_cmp_lt_i16_e64 s0, s48, 9
	s_delay_alu instid0(VALU_DEP_1)
	s_and_b32 vcc_lo, exec_lo, s0
	s_mov_b32 s0, -1
	s_cbranch_vccnz .LBB1_552
; %bb.547:                              ;   in Loop: Header=BB1_92 Depth=1
	v_cmp_ne_u16_e64 s0, s48, 9
	s_delay_alu instid0(VALU_DEP_1)
	s_and_b32 vcc_lo, exec_lo, s0
	s_mov_b32 s0, -1
	s_cbranch_vccz .LBB1_549
; %bb.548:                              ;   in Loop: Header=BB1_92 Depth=1
	v_mov_b32_e32 v31, v40
	s_add_u32 s8, s36, 0x1000
	s_addc_u32 s9, s37, 0
	s_mov_b64 s[4:5], s[38:39]
	s_mov_b64 s[10:11], s[34:35]
	s_mov_b32 s12, s41
	s_mov_b32 s13, s40
	;; [unrolled: 1-line block ×3, first 2 shown]
	s_getpc_b64 s[0:1]
	s_add_u32 s0, s0, _Z45ncclDevFunc_Reduce_RING_SIMPLE_Sum_bf16_0_1_2v@rel32@lo+4
	s_addc_u32 s1, s1, _Z45ncclDevFunc_Reduce_RING_SIMPLE_Sum_bf16_0_1_2v@rel32@hi+12
	s_delay_alu instid0(SALU_CYCLE_1)
	s_swappc_b64 s[30:31], s[0:1]
	s_mov_b32 s0, 0
.LBB1_549:                              ;   in Loop: Header=BB1_92 Depth=1
	s_delay_alu instid0(SALU_CYCLE_1)
	s_and_not1_b32 vcc_lo, exec_lo, s0
	s_cbranch_vccnz .LBB1_551
; %bb.550:                              ;   in Loop: Header=BB1_92 Depth=1
	v_mov_b32_e32 v31, v40
	s_add_u32 s8, s36, 0x1000
	s_addc_u32 s9, s37, 0
	s_mov_b64 s[4:5], s[38:39]
	s_mov_b64 s[10:11], s[34:35]
	s_mov_b32 s12, s41
	s_mov_b32 s13, s40
	;; [unrolled: 1-line block ×3, first 2 shown]
	s_getpc_b64 s[0:1]
	s_add_u32 s0, s0, _Z45ncclDevFunc_Reduce_RING_SIMPLE_Sum_bf16_0_0_2v@rel32@lo+4
	s_addc_u32 s1, s1, _Z45ncclDevFunc_Reduce_RING_SIMPLE_Sum_bf16_0_0_2v@rel32@hi+12
	s_delay_alu instid0(SALU_CYCLE_1)
	s_swappc_b64 s[30:31], s[0:1]
.LBB1_551:                              ;   in Loop: Header=BB1_92 Depth=1
	s_mov_b32 s0, 0
.LBB1_552:                              ;   in Loop: Header=BB1_92 Depth=1
	s_delay_alu instid0(SALU_CYCLE_1)
	s_and_not1_b32 vcc_lo, exec_lo, s0
	s_cbranch_vccnz .LBB1_554
; %bb.553:                              ;   in Loop: Header=BB1_92 Depth=1
	v_mov_b32_e32 v31, v40
	s_add_u32 s8, s36, 0x1000
	s_addc_u32 s9, s37, 0
	s_mov_b64 s[4:5], s[38:39]
	s_mov_b64 s[10:11], s[34:35]
	s_mov_b32 s12, s41
	s_mov_b32 s13, s40
	;; [unrolled: 1-line block ×3, first 2 shown]
	s_getpc_b64 s[0:1]
	s_add_u32 s0, s0, _Z44ncclDevFunc_Reduce_RING_SIMPLE_Sum_f64_0_0_2v@rel32@lo+4
	s_addc_u32 s1, s1, _Z44ncclDevFunc_Reduce_RING_SIMPLE_Sum_f64_0_0_2v@rel32@hi+12
	s_delay_alu instid0(SALU_CYCLE_1)
	s_swappc_b64 s[30:31], s[0:1]
.LBB1_554:                              ;   in Loop: Header=BB1_92 Depth=1
	s_mov_b32 s0, 0
.LBB1_555:                              ;   in Loop: Header=BB1_92 Depth=1
	s_delay_alu instid0(SALU_CYCLE_1)
	s_and_b32 vcc_lo, exec_lo, s0
	s_cbranch_vccz .LBB1_564
; %bb.556:                              ;   in Loop: Header=BB1_92 Depth=1
	v_cmp_lt_i16_e64 s0, s48, 6
	s_delay_alu instid0(VALU_DEP_1)
	s_and_b32 vcc_lo, exec_lo, s0
	s_mov_b32 s0, -1
	s_cbranch_vccnz .LBB1_562
; %bb.557:                              ;   in Loop: Header=BB1_92 Depth=1
	v_cmp_ne_u16_e64 s0, s48, 6
	s_delay_alu instid0(VALU_DEP_1)
	s_and_b32 vcc_lo, exec_lo, s0
	s_mov_b32 s0, -1
	s_cbranch_vccz .LBB1_559
; %bb.558:                              ;   in Loop: Header=BB1_92 Depth=1
	v_mov_b32_e32 v31, v40
	s_add_u32 s8, s36, 0x1000
	s_addc_u32 s9, s37, 0
	s_mov_b64 s[4:5], s[38:39]
	s_mov_b64 s[10:11], s[34:35]
	s_mov_b32 s12, s41
	s_mov_b32 s13, s40
	;; [unrolled: 1-line block ×3, first 2 shown]
	s_getpc_b64 s[0:1]
	s_add_u32 s0, s0, _Z44ncclDevFunc_Reduce_RING_SIMPLE_Sum_f32_0_0_2v@rel32@lo+4
	s_addc_u32 s1, s1, _Z44ncclDevFunc_Reduce_RING_SIMPLE_Sum_f32_0_0_2v@rel32@hi+12
	s_delay_alu instid0(SALU_CYCLE_1)
	s_swappc_b64 s[30:31], s[0:1]
	s_mov_b32 s0, 0
.LBB1_559:                              ;   in Loop: Header=BB1_92 Depth=1
	s_delay_alu instid0(SALU_CYCLE_1)
	s_and_not1_b32 vcc_lo, exec_lo, s0
	s_cbranch_vccnz .LBB1_561
; %bb.560:                              ;   in Loop: Header=BB1_92 Depth=1
	v_mov_b32_e32 v31, v40
	s_add_u32 s8, s36, 0x1000
	s_addc_u32 s9, s37, 0
	s_mov_b64 s[4:5], s[38:39]
	s_mov_b64 s[10:11], s[34:35]
	s_mov_b32 s12, s41
	s_mov_b32 s13, s40
	;; [unrolled: 1-line block ×3, first 2 shown]
	s_getpc_b64 s[0:1]
	s_add_u32 s0, s0, _Z44ncclDevFunc_Reduce_RING_SIMPLE_Sum_f16_0_0_2v@rel32@lo+4
	s_addc_u32 s1, s1, _Z44ncclDevFunc_Reduce_RING_SIMPLE_Sum_f16_0_0_2v@rel32@hi+12
	s_delay_alu instid0(SALU_CYCLE_1)
	s_swappc_b64 s[30:31], s[0:1]
.LBB1_561:                              ;   in Loop: Header=BB1_92 Depth=1
	s_mov_b32 s0, 0
.LBB1_562:                              ;   in Loop: Header=BB1_92 Depth=1
	s_delay_alu instid0(SALU_CYCLE_1)
	s_and_not1_b32 vcc_lo, exec_lo, s0
	s_cbranch_vccnz .LBB1_564
; %bb.563:                              ;   in Loop: Header=BB1_92 Depth=1
	v_mov_b32_e32 v31, v40
	s_add_u32 s8, s36, 0x1000
	s_addc_u32 s9, s37, 0
	s_mov_b64 s[4:5], s[38:39]
	s_mov_b64 s[10:11], s[34:35]
	s_mov_b32 s12, s41
	s_mov_b32 s13, s40
	;; [unrolled: 1-line block ×3, first 2 shown]
	s_getpc_b64 s[0:1]
	s_add_u32 s0, s0, _Z44ncclDevFunc_Reduce_RING_SIMPLE_Sum_u64_0_0_2v@rel32@lo+4
	s_addc_u32 s1, s1, _Z44ncclDevFunc_Reduce_RING_SIMPLE_Sum_u64_0_0_2v@rel32@hi+12
	s_delay_alu instid0(SALU_CYCLE_1)
	s_swappc_b64 s[30:31], s[0:1]
.LBB1_564:                              ;   in Loop: Header=BB1_92 Depth=1
	s_mov_b32 s0, 0
.LBB1_565:                              ;   in Loop: Header=BB1_92 Depth=1
	s_delay_alu instid0(SALU_CYCLE_1)
	s_and_not1_b32 vcc_lo, exec_lo, s0
	s_cbranch_vccnz .LBB1_578
; %bb.566:                              ;   in Loop: Header=BB1_92 Depth=1
	s_cmp_gt_u32 s48, 1
	s_mov_b32 s0, -1
	s_cbranch_scc0 .LBB1_576
; %bb.567:                              ;   in Loop: Header=BB1_92 Depth=1
	v_cmp_lt_i16_e64 s0, s48, 3
	s_delay_alu instid0(VALU_DEP_1)
	s_and_b32 vcc_lo, exec_lo, s0
	s_mov_b32 s0, -1
	s_cbranch_vccnz .LBB1_573
; %bb.568:                              ;   in Loop: Header=BB1_92 Depth=1
	v_cmp_ne_u16_e64 s0, s48, 3
	s_delay_alu instid0(VALU_DEP_1)
	s_and_b32 vcc_lo, exec_lo, s0
	s_mov_b32 s0, -1
	s_cbranch_vccz .LBB1_570
; %bb.569:                              ;   in Loop: Header=BB1_92 Depth=1
	v_mov_b32_e32 v31, v40
	s_add_u32 s8, s36, 0x1000
	s_addc_u32 s9, s37, 0
	s_mov_b64 s[4:5], s[38:39]
	s_mov_b64 s[10:11], s[34:35]
	s_mov_b32 s12, s41
	s_mov_b32 s13, s40
	;; [unrolled: 1-line block ×3, first 2 shown]
	s_getpc_b64 s[0:1]
	s_add_u32 s0, s0, _Z44ncclDevFunc_Reduce_RING_SIMPLE_Sum_u32_0_0_2v@rel32@lo+4
	s_addc_u32 s1, s1, _Z44ncclDevFunc_Reduce_RING_SIMPLE_Sum_u32_0_0_2v@rel32@hi+12
	s_delay_alu instid0(SALU_CYCLE_1)
	s_swappc_b64 s[30:31], s[0:1]
	s_mov_b32 s0, 0
.LBB1_570:                              ;   in Loop: Header=BB1_92 Depth=1
	s_delay_alu instid0(SALU_CYCLE_1)
	s_and_not1_b32 vcc_lo, exec_lo, s0
	s_cbranch_vccnz .LBB1_572
; %bb.571:                              ;   in Loop: Header=BB1_92 Depth=1
	v_mov_b32_e32 v31, v40
	s_add_u32 s8, s36, 0x1000
	s_addc_u32 s9, s37, 0
	s_mov_b64 s[4:5], s[38:39]
	s_mov_b64 s[10:11], s[34:35]
	s_mov_b32 s12, s41
	s_mov_b32 s13, s40
	;; [unrolled: 1-line block ×3, first 2 shown]
	s_getpc_b64 s[0:1]
	s_add_u32 s0, s0, _Z43ncclDevFunc_Reduce_RING_SIMPLE_Sum_u8_0_0_2v@rel32@lo+4
	s_addc_u32 s1, s1, _Z43ncclDevFunc_Reduce_RING_SIMPLE_Sum_u8_0_0_2v@rel32@hi+12
	s_delay_alu instid0(SALU_CYCLE_1)
	s_swappc_b64 s[30:31], s[0:1]
.LBB1_572:                              ;   in Loop: Header=BB1_92 Depth=1
	s_mov_b32 s0, 0
.LBB1_573:                              ;   in Loop: Header=BB1_92 Depth=1
	s_delay_alu instid0(SALU_CYCLE_1)
	s_and_not1_b32 vcc_lo, exec_lo, s0
	s_cbranch_vccnz .LBB1_575
; %bb.574:                              ;   in Loop: Header=BB1_92 Depth=1
	v_mov_b32_e32 v31, v40
	s_add_u32 s8, s36, 0x1000
	s_addc_u32 s9, s37, 0
	s_mov_b64 s[4:5], s[38:39]
	s_mov_b64 s[10:11], s[34:35]
	s_mov_b32 s12, s41
	s_mov_b32 s13, s40
	;; [unrolled: 1-line block ×3, first 2 shown]
	s_getpc_b64 s[0:1]
	s_add_u32 s0, s0, _Z46ncclDevFunc_Broadcast_RING_SIMPLE_Sum_i8_0_0_2v@rel32@lo+4
	s_addc_u32 s1, s1, _Z46ncclDevFunc_Broadcast_RING_SIMPLE_Sum_i8_0_0_2v@rel32@hi+12
	s_delay_alu instid0(SALU_CYCLE_1)
	s_swappc_b64 s[30:31], s[0:1]
.LBB1_575:                              ;   in Loop: Header=BB1_92 Depth=1
	s_mov_b32 s0, 0
.LBB1_576:                              ;   in Loop: Header=BB1_92 Depth=1
	s_delay_alu instid0(SALU_CYCLE_1)
	s_and_b32 vcc_lo, exec_lo, s0
	s_cbranch_vccz .LBB1_578
; %bb.577:                              ;   in Loop: Header=BB1_92 Depth=1
	v_mov_b32_e32 v31, v40
	s_add_u32 s8, s36, 0x1000
	s_addc_u32 s9, s37, 0
	s_mov_b64 s[4:5], s[38:39]
	s_mov_b64 s[10:11], s[34:35]
	s_mov_b32 s12, s41
	s_mov_b32 s13, s40
	;; [unrolled: 1-line block ×3, first 2 shown]
	s_getpc_b64 s[0:1]
	s_add_u32 s0, s0, _Z42ncclDevFunc_Broadcast_RING_LL_Sum_i8_0_0_2v@rel32@lo+4
	s_addc_u32 s1, s1, _Z42ncclDevFunc_Broadcast_RING_LL_Sum_i8_0_0_2v@rel32@hi+12
	s_delay_alu instid0(SALU_CYCLE_1)
	s_swappc_b64 s[30:31], s[0:1]
.LBB1_578:                              ;   in Loop: Header=BB1_92 Depth=1
	ds_load_b32 v0, v41 offset:17060
	s_waitcnt lgkmcnt(0)
	v_cmp_eq_u32_e32 vcc_lo, -1, v0
	v_readfirstlane_b32 s2, v0
	s_cbranch_vccnz .LBB1_593
; %bb.579:                              ;   in Loop: Header=BB1_92 Depth=1
	s_waitcnt_vscnt null, 0x0
	s_barrier
	buffer_gl0_inv
	s_and_saveexec_b32 s0, s45
	s_cbranch_execz .LBB1_583
; %bb.580:                              ;   in Loop: Header=BB1_92 Depth=1
	s_and_saveexec_b32 s1, s43
	s_cbranch_execz .LBB1_582
; %bb.581:                              ;   in Loop: Header=BB1_92 Depth=1
	v_mov_b32_e32 v42, v41
	ds_store_b64 v41, v[41:42] offset:21208
.LBB1_582:                              ;   in Loop: Header=BB1_92 Depth=1
	s_or_b32 exec_lo, exec_lo, s1
	v_mov_b32_e32 v42, v41
	ds_store_b64 v44, v[41:42]
.LBB1_583:                              ;   in Loop: Header=BB1_92 Depth=1
	s_or_b32 exec_lo, exec_lo, s0
	s_and_saveexec_b32 s0, s42
	s_cbranch_execz .LBB1_595
; %bb.584:                              ;   in Loop: Header=BB1_92 Depth=1
	ds_load_b32 v6, v41 offset:17068
	ds_load_b64 v[2:3], v41 offset:17040
	s_waitcnt lgkmcnt(1)
	v_ashrrev_i32_e32 v5, 31, v6
	s_waitcnt lgkmcnt(0)
	v_add_co_u32 v0, vcc_lo, v2, 1
	v_add_co_ci_u32_e32 v1, vcc_lo, 0, v3, vcc_lo
	v_add_co_u32 v4, vcc_lo, v2, v6
	v_add_co_ci_u32_e32 v5, vcc_lo, v3, v5, vcc_lo
	s_delay_alu instid0(VALU_DEP_1)
	v_cmp_gt_u64_e32 vcc_lo, v[0:1], v[4:5]
	s_cbranch_vccnz .LBB1_594
; %bb.585:                              ;   in Loop: Header=BB1_92 Depth=1
	ds_load_u8 v7, v41 offset:17064
	s_movk_i32 s1, 0x4f0e
	s_movk_i32 s3, 0x4eda
	s_branch .LBB1_587
.LBB1_586:                              ;   in Loop: Header=BB1_587 Depth=2
	s_waitcnt lgkmcnt(0)
	v_ashrrev_i32_e32 v5, 31, v6
	v_add_co_u32 v0, vcc_lo, v0, 1
	v_add_co_ci_u32_e32 v1, vcc_lo, 0, v1, vcc_lo
	v_add_co_u32 v4, vcc_lo, v2, v6
	s_delay_alu instid0(VALU_DEP_4) | instskip(SKIP_2) | instid1(VALU_DEP_1)
	v_add_co_ci_u32_e32 v5, vcc_lo, v3, v5, vcc_lo
	s_add_i32 s1, s1, 64
	s_addk_i32 s3, 0x80
	v_cmp_le_u64_e32 vcc_lo, v[0:1], v[4:5]
	s_cbranch_vccz .LBB1_594
.LBB1_587:                              ;   Parent Loop BB1_92 Depth=1
                                        ; =>  This Inner Loop Header: Depth=2
	s_waitcnt lgkmcnt(0)
	v_and_b32_e32 v4, 0xff, v7
	s_delay_alu instid0(VALU_DEP_1)
	v_cmp_ne_u16_e32 vcc_lo, 0, v4
	s_cbranch_vccz .LBB1_592
; %bb.588:                              ;   in Loop: Header=BB1_587 Depth=2
	v_mov_b32_e32 v4, s3
	ds_load_u8 v4, v4
	s_waitcnt lgkmcnt(0)
	v_and_b32_e32 v4, 1, v4
	s_cbranch_execnz .LBB1_590
.LBB1_589:                              ;   in Loop: Header=BB1_587 Depth=2
	v_mov_b32_e32 v4, s1
	ds_load_u16 v4, v4
	s_waitcnt lgkmcnt(0)
	v_bfe_u32 v4, v4, 6, 1
.LBB1_590:                              ;   in Loop: Header=BB1_587 Depth=2
	s_delay_alu instid0(VALU_DEP_1)
	v_cmp_eq_u32_e32 vcc_lo, 0, v4
	s_cbranch_vccnz .LBB1_586
; %bb.591:                              ;   in Loop: Header=BB1_587 Depth=2
	s_sendmsg_rtn_b64 s[4:5], sendmsg(MSG_RTN_GET_REALTIME)
	ds_load_u8 v7, v41 offset:17064
	ds_load_b32 v2, v41 offset:16560
	ds_load_b64 v[4:5], v41 offset:16664
	v_and_b32_e32 v6, 63, v0
	s_waitcnt lgkmcnt(0)
	v_ashrrev_i32_e32 v3, 31, v2
	s_delay_alu instid0(VALU_DEP_1) | instskip(NEXT) | instid1(VALU_DEP_3)
	v_lshlrev_b64 v[8:9], 10, v[2:3]
	v_dual_mov_b32 v3, s5 :: v_dual_lshlrev_b32 v6, 4, v6
	v_mov_b32_e32 v2, s4
	s_delay_alu instid0(VALU_DEP_3) | instskip(NEXT) | instid1(VALU_DEP_4)
	v_add_co_u32 v4, vcc_lo, v4, v8
	v_add_co_ci_u32_e32 v5, vcc_lo, v5, v9, vcc_lo
	s_delay_alu instid0(VALU_DEP_2) | instskip(NEXT) | instid1(VALU_DEP_2)
	v_add_co_u32 v4, vcc_lo, v4, v6
	v_add_co_ci_u32_e32 v5, vcc_lo, 0, v5, vcc_lo
	flat_store_b128 v[4:5], v[0:3]
	ds_load_b64 v[2:3], v41 offset:17040
	ds_load_b32 v6, v41 offset:17068
	s_branch .LBB1_586
.LBB1_592:                              ;   in Loop: Header=BB1_587 Depth=2
                                        ; implicit-def: $vgpr4
	s_branch .LBB1_589
.LBB1_593:                              ;   in Loop: Header=BB1_92 Depth=1
	s_cbranch_execz .LBB1_92
	s_branch .LBB1_78
.LBB1_594:                              ;   in Loop: Header=BB1_92 Depth=1
	ds_store_b64 v41, v[4:5] offset:17040
.LBB1_595:                              ;   in Loop: Header=BB1_92 Depth=1
	s_or_b32 exec_lo, exec_lo, s0
	v_mov_b32_e32 v9, v43
	s_mov_b32 s8, 0
                                        ; implicit-def: $vgpr0_vgpr1_vgpr2_vgpr3
	s_branch .LBB1_598
.LBB1_596:                              ;   in Loop: Header=BB1_598 Depth=2
	s_or_b32 exec_lo, exec_lo, s5
	v_mov_b32_e32 v4, v9
	s_mov_b32 s5, s2
.LBB1_597:                              ;   in Loop: Header=BB1_598 Depth=2
	s_delay_alu instid0(VALU_DEP_1)
	v_mov_b32_e32 v9, v4
	s_and_not1_b32 vcc_lo, exec_lo, s1
	s_mov_b32 s2, s5
	s_cbranch_vccz .LBB1_91
.LBB1_598:                              ;   Parent Loop BB1_92 Depth=1
                                        ; =>  This Inner Loop Header: Depth=2
	s_ashr_i32 s3, s2, 31
	s_delay_alu instid0(SALU_CYCLE_1) | instskip(NEXT) | instid1(SALU_CYCLE_1)
	s_lshl_b64 s[0:1], s[2:3], 4
	s_add_u32 s0, s46, s0
	s_addc_u32 s1, s47, s1
	s_load_b128 s[4:7], s[0:1], 0x0
	s_mov_b32 s0, exec_lo
	s_waitcnt lgkmcnt(0)
	v_and_b32_e32 v4, s6, v46
	s_delay_alu instid0(VALU_DEP_1)
	v_cmpx_ne_u32_e32 0, v4
	s_cbranch_execz .LBB1_600
; %bb.599:                              ;   in Loop: Header=BB1_598 Depth=2
	v_and_b32_e32 v4, s6, v47
	s_delay_alu instid0(VALU_DEP_1)
	v_bcnt_u32_b32 v4, v4, v45
	ds_store_b8 v4, v43
.LBB1_600:                              ;   in Loop: Header=BB1_598 Depth=2
	s_or_b32 exec_lo, exec_lo, s0
	v_and_b32_e32 v4, s7, v46
	s_bcnt1_i32_b32 s0, s6
	s_mov_b32 s1, exec_lo
	s_delay_alu instid0(VALU_DEP_1)
	v_cmpx_ne_u32_e32 0, v4
	s_cbranch_execz .LBB1_602
; %bb.601:                              ;   in Loop: Header=BB1_598 Depth=2
	v_and_b32_e32 v4, s7, v47
	s_delay_alu instid0(VALU_DEP_1) | instskip(NEXT) | instid1(VALU_DEP_1)
	v_bcnt_u32_b32 v4, v4, 0
	v_add3_u32 v4, v45, s0, v4
	ds_store_b8 v4, v56
.LBB1_602:                              ;   in Loop: Header=BB1_598 Depth=2
	s_or_b32 exec_lo, exec_lo, s1
	s_bcnt1_i32_b32 s6, s7
	s_bfe_u32 s3, s4, 0x2000f
	s_add_i32 s6, s6, s0
	s_cmp_lt_i32 s3, 1
	s_cbranch_scc1 .LBB1_605
; %bb.603:                              ;   in Loop: Header=BB1_598 Depth=2
	s_cmp_lg_u32 s3, 1
	s_cbranch_scc0 .LBB1_606
; %bb.604:                              ;   in Loop: Header=BB1_598 Depth=2
	v_mul_u32_u24_e64 v4, s6, 20
	s_mov_b32 s1, 20
	s_movk_i32 s7, 0x140
	s_cbranch_execz .LBB1_607
	s_branch .LBB1_608
.LBB1_605:                              ;   in Loop: Header=BB1_598 Depth=2
                                        ; implicit-def: $vgpr4
                                        ; implicit-def: $sgpr7
                                        ; implicit-def: $sgpr1
	s_branch .LBB1_609
.LBB1_606:                              ;   in Loop: Header=BB1_598 Depth=2
                                        ; implicit-def: $vgpr4
                                        ; implicit-def: $sgpr7
                                        ; implicit-def: $sgpr1
.LBB1_607:                              ;   in Loop: Header=BB1_598 Depth=2
	s_lshl_b32 s0, s6, 3
	s_mov_b32 s1, 8
	v_mov_b32_e32 v4, s0
	s_movk_i32 s7, 0x80
.LBB1_608:                              ;   in Loop: Header=BB1_598 Depth=2
	s_cbranch_execnz .LBB1_610
.LBB1_609:                              ;   in Loop: Header=BB1_598 Depth=2
	s_lshl_b32 s0, s6, 2
	s_mov_b32 s7, 64
	v_mov_b32_e32 v4, s0
	s_mov_b32 s1, 4
.LBB1_610:                              ;   in Loop: Header=BB1_598 Depth=2
	v_cmp_eq_u32_e64 s0, 0, v9
	s_delay_alu instid0(VALU_DEP_1)
	s_and_saveexec_b32 s9, s0
	s_cbranch_execz .LBB1_612
; %bb.611:                              ;   in Loop: Header=BB1_598 Depth=2
	v_mov_b32_e32 v5, s7
	ds_store_b32 v41, v5 offset:17072
	s_or_b32 exec_lo, exec_lo, s9
	s_delay_alu instid0(SALU_CYCLE_1)
	s_mov_b32 s9, exec_lo
	v_cmpx_lt_i32_e64 v9, v4
	s_cbranch_execz .LBB1_620
	s_branch .LBB1_613
.LBB1_612:                              ;   in Loop: Header=BB1_598 Depth=2
	s_or_b32 exec_lo, exec_lo, s9
	s_delay_alu instid0(SALU_CYCLE_1)
	s_mov_b32 s9, exec_lo
	v_cmpx_lt_i32_e64 v9, v4
	s_cbranch_execz .LBB1_620
.LBB1_613:                              ;   in Loop: Header=BB1_598 Depth=2
	v_cvt_f32_u32_e32 v4, s1
	s_sub_i32 s10, 0, s1
	v_sub_nc_u32_e32 v6, 0, v9
	s_delay_alu instid0(VALU_DEP_2) | instskip(NEXT) | instid1(VALU_DEP_1)
	v_rcp_iflag_f32_e32 v4, v4
	v_max_i32_e32 v6, v9, v6
	s_waitcnt_depctr 0xfff
	v_mul_f32_e32 v4, 0x4f7ffffe, v4
	s_delay_alu instid0(VALU_DEP_1) | instskip(NEXT) | instid1(VALU_DEP_1)
	v_cvt_u32_f32_e32 v4, v4
	v_mul_lo_u32 v5, s10, v4
	s_delay_alu instid0(VALU_DEP_1) | instskip(NEXT) | instid1(VALU_DEP_1)
	v_mul_hi_u32 v5, v4, v5
	v_add_nc_u32_e32 v4, v4, v5
	s_delay_alu instid0(VALU_DEP_1) | instskip(NEXT) | instid1(VALU_DEP_1)
	v_mul_hi_u32 v4, v6, v4
	v_mul_lo_u32 v5, v4, s1
	s_delay_alu instid0(VALU_DEP_1) | instskip(SKIP_1) | instid1(VALU_DEP_2)
	v_sub_nc_u32_e32 v5, v6, v5
	v_add_nc_u32_e32 v6, 1, v4
	v_subrev_nc_u32_e32 v7, s1, v5
	v_cmp_le_u32_e32 vcc_lo, s1, v5
	s_delay_alu instid0(VALU_DEP_2) | instskip(SKIP_1) | instid1(VALU_DEP_2)
	v_dual_cndmask_b32 v5, v5, v7 :: v_dual_cndmask_b32 v4, v4, v6
	v_ashrrev_i32_e32 v7, 31, v9
	v_cmp_le_u32_e32 vcc_lo, s1, v5
	s_delay_alu instid0(VALU_DEP_3) | instskip(SKIP_2) | instid1(VALU_DEP_1)
	v_add_nc_u32_e32 v6, 1, v4
	ds_load_u8 v5, v41 offset:16536
	v_cndmask_b32_e32 v4, v4, v6, vcc_lo
	v_xor_b32_e32 v4, v4, v7
	s_delay_alu instid0(VALU_DEP_1) | instskip(NEXT) | instid1(VALU_DEP_1)
	v_sub_nc_u32_e32 v10, v4, v7
	v_add_nc_u32_e32 v4, v45, v10
	v_mul_lo_u32 v6, v10, s1
	ds_load_u8 v4, v4
	s_waitcnt lgkmcnt(1)
	v_cmp_ne_u16_e64 s1, 0, v5
	v_sub_nc_u32_e32 v5, v9, v6
	s_delay_alu instid0(VALU_DEP_2) | instskip(NEXT) | instid1(VALU_DEP_1)
	s_and_b32 vcc_lo, exec_lo, s1
	v_lshlrev_b32_e32 v11, 4, v5
	s_cbranch_vccz .LBB1_616
; %bb.614:                              ;   in Loop: Header=BB1_598 Depth=2
	s_and_b32 vcc_lo, exec_lo, s1
	s_cbranch_vccz .LBB1_617
.LBB1_615:                              ;   in Loop: Header=BB1_598 Depth=2
	ds_load_b32 v12, v41 offset:16540
	ds_load_b64 v[6:7], v41 offset:16544
	s_waitcnt lgkmcnt(2)
	v_mul_u32_u24_e32 v4, s7, v4
	v_lshlrev_b32_e32 v8, 4, v5
	s_delay_alu instid0(VALU_DEP_1) | instskip(SKIP_1) | instid1(VALU_DEP_1)
	v_add3_u32 v4, v8, s5, v4
	s_waitcnt lgkmcnt(1)
	v_and_b32_e32 v4, v12, v4
	s_waitcnt lgkmcnt(0)
	s_delay_alu instid0(VALU_DEP_1)
	v_add_co_u32 v4, vcc_lo, v6, v4
	v_add_co_ci_u32_e32 v5, vcc_lo, 0, v7, vcc_lo
	flat_load_b128 v[4:7], v[4:5]
	s_cbranch_execz .LBB1_618
	s_branch .LBB1_619
.LBB1_616:                              ;   in Loop: Header=BB1_598 Depth=2
	s_waitcnt lgkmcnt(0)
	v_mul_u32_u24_e32 v0, s7, v4
	v_lshlrev_b32_e32 v1, 4, v5
	s_delay_alu instid0(VALU_DEP_1)
	v_add3_u32 v0, v1, s5, v0
	global_load_b128 v[0:3], v0, s[36:37]
	s_and_b32 vcc_lo, exec_lo, s1
	s_cbranch_vccnz .LBB1_615
.LBB1_617:                              ;   in Loop: Header=BB1_598 Depth=2
                                        ; implicit-def: $vgpr4_vgpr5_vgpr6_vgpr7
                                        ; implicit-def: $vgpr8
.LBB1_618:                              ;   in Loop: Header=BB1_598 Depth=2
	s_waitcnt vmcnt(0) lgkmcnt(0)
	v_dual_mov_b32 v7, v3 :: v_dual_mov_b32 v6, v2
	v_dual_mov_b32 v8, v11 :: v_dual_mov_b32 v5, v1
	v_mov_b32_e32 v4, v0
.LBB1_619:                              ;   in Loop: Header=BB1_598 Depth=2
	s_waitcnt vmcnt(0)
	v_add_nc_u32_e32 v0, s8, v10
	s_delay_alu instid0(VALU_DEP_1)
	v_mad_u64_u32 v[10:11], null, v0, s7, v[8:9]
	s_waitcnt lgkmcnt(0)
	v_dual_mov_b32 v0, v4 :: v_dual_mov_b32 v3, v7
	v_dual_mov_b32 v1, v5 :: v_dual_mov_b32 v2, v6
	ds_store_b128 v10, v[4:7] offset:20176
.LBB1_620:                              ;   in Loop: Header=BB1_598 Depth=2
	s_or_b32 exec_lo, exec_lo, s9
	s_bitcmp0_b32 s4, 14
	s_cselect_b32 s1, -1, 0
	s_delay_alu instid0(SALU_CYCLE_1)
	s_and_b32 vcc_lo, exec_lo, s1
	s_cbranch_vccnz .LBB1_622
; %bb.621:                              ;   in Loop: Header=BB1_598 Depth=2
	v_cmp_gt_i32_e32 vcc_lo, 64, v9
	s_and_b32 s5, s4, 0x3fff
	s_delay_alu instid0(SALU_CYCLE_1) | instskip(SKIP_1) | instid1(VALU_DEP_1)
	s_add_i32 s5, s5, s2
	v_cndmask_b32_e64 v4, 0, s44, vcc_lo
	v_add3_u32 v4, v9, v4, 0xffffffc0
	s_add_i32 s8, s6, s8
	s_cbranch_execnz .LBB1_597
	s_branch .LBB1_623
.LBB1_622:                              ;   in Loop: Header=BB1_598 Depth=2
                                        ; implicit-def: $vgpr4
                                        ; implicit-def: $sgpr5
	s_add_i32 s8, s6, s8
.LBB1_623:                              ;   in Loop: Header=BB1_598 Depth=2
	s_and_saveexec_b32 s5, s0
	s_cbranch_execz .LBB1_596
; %bb.624:                              ;   in Loop: Header=BB1_598 Depth=2
	s_and_b32 s0, s4, 0x3fff
	v_dual_mov_b32 v6, s3 :: v_dual_mov_b32 v7, s8
	s_add_i32 s6, s0, s2
	s_cmp_lg_u32 s0, 0
	v_mov_b32_e32 v9, 0
	s_cselect_b32 s0, s6, -1
	s_delay_alu instid0(SALU_CYCLE_1) | instskip(SKIP_1) | instid1(SALU_CYCLE_1)
	v_dual_mov_b32 v4, s2 :: v_dual_mov_b32 v5, s0
	s_lshr_b32 s0, s4, 17
	v_mov_b32_e32 v8, s0
	ds_store_b64 v41, v[4:5] offset:17056
	ds_store_b8 v41, v6 offset:17064
	ds_store_b32 v41, v7 offset:17068
	ds_store_b16 v41, v8 offset:17066
	s_branch .LBB1_596
	.section	.rodata,"a",@progbits
	.p2align	6, 0x0
	.amdhsa_kernel _Z23ncclDevKernel_Generic_224ncclDevKernelArgsStorageILm4096EE
		.amdhsa_group_segment_fixed_size 21216
		.amdhsa_private_segment_fixed_size 0
		.amdhsa_kernarg_size 4352
		.amdhsa_user_sgpr_count 13
		.amdhsa_user_sgpr_dispatch_ptr 1
		.amdhsa_user_sgpr_queue_ptr 0
		.amdhsa_user_sgpr_kernarg_segment_ptr 1
		.amdhsa_user_sgpr_dispatch_id 1
		.amdhsa_user_sgpr_private_segment_size 0
		.amdhsa_wavefront_size32 1
		.amdhsa_uses_dynamic_stack 1
		.amdhsa_enable_private_segment 1
		.amdhsa_system_sgpr_workgroup_id_x 1
		.amdhsa_system_sgpr_workgroup_id_y 1
		.amdhsa_system_sgpr_workgroup_id_z 1
		.amdhsa_system_sgpr_workgroup_info 0
		.amdhsa_system_vgpr_workitem_id 2
		.amdhsa_next_free_vgpr 57
		.amdhsa_next_free_sgpr 49
		.amdhsa_reserve_vcc 1
		.amdhsa_float_round_mode_32 0
		.amdhsa_float_round_mode_16_64 0
		.amdhsa_float_denorm_mode_32 3
		.amdhsa_float_denorm_mode_16_64 3
		.amdhsa_dx10_clamp 1
		.amdhsa_ieee_mode 1
		.amdhsa_fp16_overflow 0
		.amdhsa_workgroup_processor_mode 1
		.amdhsa_memory_ordered 1
		.amdhsa_forward_progress 0
		.amdhsa_shared_vgpr_count 0
		.amdhsa_exception_fp_ieee_invalid_op 0
		.amdhsa_exception_fp_denorm_src 0
		.amdhsa_exception_fp_ieee_div_zero 0
		.amdhsa_exception_fp_ieee_overflow 0
		.amdhsa_exception_fp_ieee_underflow 0
		.amdhsa_exception_fp_ieee_inexact 0
		.amdhsa_exception_int_div_zero 0
	.end_amdhsa_kernel
	.text
.Lfunc_end1:
	.size	_Z23ncclDevKernel_Generic_224ncclDevKernelArgsStorageILm4096EE, .Lfunc_end1-_Z23ncclDevKernel_Generic_224ncclDevKernelArgsStorageILm4096EE
                                        ; -- End function
	.section	.AMDGPU.csdata,"",@progbits
; Kernel info:
; codeLenInByte = 17472
; NumSgprs: 51
; NumVgprs: 57
; ScratchSize: 0
; MemoryBound: 1
; FloatMode: 240
; IeeeMode: 1
; LDSByteSize: 21216 bytes/workgroup (compile time only)
; SGPRBlocks: 6
; VGPRBlocks: 7
; NumSGPRsForWavesPerEU: 51
; NumVGPRsForWavesPerEU: 57
; Occupancy: 12
; WaveLimiterHint : 0
; COMPUTE_PGM_RSRC2:SCRATCH_EN: 1
; COMPUTE_PGM_RSRC2:USER_SGPR: 13
; COMPUTE_PGM_RSRC2:TRAP_HANDLER: 0
; COMPUTE_PGM_RSRC2:TGID_X_EN: 1
; COMPUTE_PGM_RSRC2:TGID_Y_EN: 1
; COMPUTE_PGM_RSRC2:TGID_Z_EN: 1
; COMPUTE_PGM_RSRC2:TIDIG_COMP_CNT: 2
	.text
	.protected	_Z23ncclDevKernel_Generic_424ncclDevKernelArgsStorageILm4096EE ; -- Begin function _Z23ncclDevKernel_Generic_424ncclDevKernelArgsStorageILm4096EE
	.globl	_Z23ncclDevKernel_Generic_424ncclDevKernelArgsStorageILm4096EE
	.p2align	8
	.type	_Z23ncclDevKernel_Generic_424ncclDevKernelArgsStorageILm4096EE,@function
_Z23ncclDevKernel_Generic_424ncclDevKernelArgsStorageILm4096EE: ; @_Z23ncclDevKernel_Generic_424ncclDevKernelArgsStorageILm4096EE
; %bb.0:
	v_mov_b32_e32 v40, v0
	s_mov_b32 s33, s15
	s_mov_b32 s40, s14
	;; [unrolled: 1-line block ×3, first 2 shown]
	s_mov_b64 s[34:35], s[4:5]
	v_and_b32_e32 v9, 0x3ff, v40
	s_mov_b64 s[36:37], s[2:3]
	s_mov_b64 s[38:39], s[0:1]
	s_mov_b32 s0, exec_lo
	s_mov_b32 s32, 0
	v_cmpx_gt_u32_e32 12, v9
	s_cbranch_execz .LBB2_2
; %bb.1:
	v_lshlrev_b32_e32 v0, 2, v9
	global_load_b32 v1, v0, s[36:37]
	s_waitcnt vmcnt(0)
	ds_store_b32 v0, v1 offset:16512
.LBB2_2:
	s_or_b32 exec_lo, exec_lo, s0
	s_load_b32 s4, s[36:37], 0x100c
	v_lshrrev_b32_e32 v10, 5, v9
	s_mov_b32 s0, exec_lo
	s_delay_alu instid0(VALU_DEP_1)
	v_cmpx_lt_i32_e32 0, v10
	s_xor_b32 s0, exec_lo, s0
	s_cbranch_execz .LBB2_16
; %bb.3:
	s_mov_b32 s1, exec_lo
	v_cmpx_lt_i32_e32 2, v10
	s_xor_b32 s1, exec_lo, s1
	s_cbranch_execz .LBB2_8
; %bb.4:
	s_mov_b32 s2, exec_lo
	v_cmpx_eq_u32_e32 3, v10
	s_cbranch_execz .LBB2_7
; %bb.5:
	v_cmp_eq_u32_e32 vcc_lo, 0x60, v9
	s_and_b32 exec_lo, exec_lo, vcc_lo
	s_cbranch_execz .LBB2_7
; %bb.6:
	v_mov_b32_e32 v0, 0
	ds_store_b32 v0, v0 offset:16564
.LBB2_7:
	s_or_b32 exec_lo, exec_lo, s2
.LBB2_8:
	s_and_not1_saveexec_b32 s1, s1
	s_cbranch_execz .LBB2_15
; %bb.9:
	s_mov_b32 s2, exec_lo
	v_cmpx_eq_u32_e32 1, v10
	s_cbranch_execz .LBB2_14
; %bb.10:
	v_cmp_gt_u32_e32 vcc_lo, 40, v9
	s_and_b32 exec_lo, exec_lo, vcc_lo
	s_cbranch_execz .LBB2_14
; %bb.11:
	s_mov_b32 s3, exec_lo
	v_cmpx_eq_u32_e32 32, v9
	s_cbranch_execz .LBB2_13
; %bb.12:
	v_mov_b32_e32 v0, 0
	s_delay_alu instid0(VALU_DEP_1)
	v_mov_b32_e32 v1, v0
	ds_store_b64 v0, v[0:1] offset:21208
.LBB2_13:
	s_or_b32 exec_lo, exec_lo, s3
	v_mov_b32_e32 v0, 0
	v_mul_u32_u24_e32 v2, 0x160, v9
	s_delay_alu instid0(VALU_DEP_2)
	v_mov_b32_e32 v1, v0
	ds_store_b64 v2, v[0:1] offset:6104
.LBB2_14:
	s_or_b32 exec_lo, exec_lo, s2
.LBB2_15:
	s_delay_alu instid0(SALU_CYCLE_1)
	s_or_b32 exec_lo, exec_lo, s1
.LBB2_16:
	s_and_not1_saveexec_b32 s5, s0
	s_cbranch_execz .LBB2_32
; %bb.17:
	s_load_b64 s[2:3], s[36:37], 0x8
	v_lshlrev_b64 v[0:1], v9, 1
	s_mov_b32 s6, 0
	s_mov_b32 s1, exec_lo
                                        ; implicit-def: $sgpr7
	s_waitcnt lgkmcnt(0)
	s_delay_alu instid0(VALU_DEP_1) | instskip(NEXT) | instid1(VALU_DEP_2)
	v_and_b32_e32 v3, s3, v1
	v_and_b32_e32 v2, s2, v0
	s_delay_alu instid0(VALU_DEP_1)
	v_cmp_eq_u64_e64 s0, 0, v[2:3]
	v_cmpx_ne_u64_e32 0, v[2:3]
	s_cbranch_execz .LBB2_19
; %bb.18:
	v_add_co_u32 v0, vcc_lo, v0, -1
	v_add_co_ci_u32_e32 v1, vcc_lo, -1, v1, vcc_lo
	s_delay_alu instid0(VALU_DEP_4) | instskip(NEXT) | instid1(VALU_DEP_2)
	s_and_not1_b32 s0, s0, exec_lo
	v_and_b32_e32 v0, s2, v0
	s_mov_b32 s6, exec_lo
	s_delay_alu instid0(VALU_DEP_2) | instskip(SKIP_1) | instid1(VALU_DEP_2)
	v_and_b32_e32 v1, s3, v1
	s_mov_b32 s7, 0
	v_bcnt_u32_b32 v0, v0, 0
	s_delay_alu instid0(VALU_DEP_1) | instskip(NEXT) | instid1(VALU_DEP_1)
	v_bcnt_u32_b32 v0, v1, v0
	v_cmp_ne_u32_e32 vcc_lo, s41, v0
	s_and_b32 s8, vcc_lo, exec_lo
	s_delay_alu instid0(SALU_CYCLE_1)
	s_or_b32 s0, s0, s8
.LBB2_19:
	s_or_b32 exec_lo, exec_lo, s1
	v_mov_b32_e32 v0, s7
	v_mov_b32_e32 v2, v9
	s_and_saveexec_b32 s7, s0
	s_cbranch_execz .LBB2_29
; %bb.20:
	v_add_nc_u32_e32 v2, 32, v9
	s_delay_alu instid0(VALU_DEP_1) | instskip(NEXT) | instid1(VALU_DEP_1)
	v_lshlrev_b64 v[0:1], v2, 1
	v_and_b32_e32 v4, s3, v1
	s_delay_alu instid0(VALU_DEP_2) | instskip(NEXT) | instid1(VALU_DEP_1)
	v_and_b32_e32 v3, s2, v0
	v_cmp_eq_u64_e64 s1, 0, v[3:4]
	v_cmp_ne_u64_e32 vcc_lo, 0, v[3:4]
	v_add_co_u32 v3, s0, v0, -1
	s_delay_alu instid0(VALU_DEP_1)
	v_add_co_ci_u32_e64 v4, s0, -1, v1, s0
	s_and_saveexec_b32 s0, vcc_lo
	s_cbranch_execz .LBB2_24
; %bb.21:
	s_delay_alu instid0(VALU_DEP_2) | instskip(NEXT) | instid1(VALU_DEP_2)
	v_and_b32_e32 v5, s2, v3
	v_and_b32_e32 v6, s3, v4
	s_mov_b32 s8, -1
	s_mov_b32 s9, exec_lo
	s_delay_alu instid0(VALU_DEP_2) | instskip(NEXT) | instid1(VALU_DEP_1)
	v_bcnt_u32_b32 v5, v5, 0
	v_bcnt_u32_b32 v6, v6, v5
	v_mov_b32_e32 v5, 0
	s_delay_alu instid0(VALU_DEP_2)
	v_cmpx_eq_u32_e64 s41, v6
	s_cbranch_execz .LBB2_23
; %bb.22:
	s_xor_b32 s8, exec_lo, -1
	ds_store_b32 v5, v2 offset:16560
.LBB2_23:
	s_or_b32 exec_lo, exec_lo, s9
	s_delay_alu instid0(SALU_CYCLE_1) | instskip(SKIP_1) | instid1(SALU_CYCLE_1)
	s_and_not1_b32 s1, s1, exec_lo
	s_and_b32 s8, s8, exec_lo
	s_or_b32 s1, s1, s8
.LBB2_24:
	s_or_b32 exec_lo, exec_lo, s0
	s_mov_b32 s0, 0
                                        ; implicit-def: $sgpr9
	s_and_saveexec_b32 s8, s1
	s_cbranch_execz .LBB2_28
; %bb.25:
	s_load_b64 s[0:1], s[36:37], 0x10
	s_mov_b32 s11, 0
	s_mov_b32 s10, exec_lo
                                        ; implicit-def: $sgpr9
	s_waitcnt lgkmcnt(0)
	v_and_b32_e32 v1, s1, v1
	v_and_b32_e32 v0, s0, v0
	s_delay_alu instid0(VALU_DEP_1)
	v_cmpx_ne_u64_e32 0, v[0:1]
	s_xor_b32 s10, exec_lo, s10
; %bb.26:
	v_and_b32_e32 v0, s0, v3
	v_and_b32_e32 v1, s1, v4
	s_bcnt1_i32_b64 s9, s[2:3]
	s_delay_alu instid0(VALU_DEP_2) | instskip(NEXT) | instid1(VALU_DEP_1)
	v_bcnt_u32_b32 v0, v0, 0
	v_bcnt_u32_b32 v0, v1, v0
	s_delay_alu instid0(VALU_DEP_1) | instskip(NEXT) | instid1(VALU_DEP_1)
	v_add_nc_u32_e32 v0, s9, v0
	v_cmp_eq_u32_e32 vcc_lo, s41, v0
	s_and_b32 s11, vcc_lo, exec_lo
; %bb.27:
	s_or_b32 exec_lo, exec_lo, s10
	s_delay_alu instid0(SALU_CYCLE_1)
	s_and_b32 s0, s11, exec_lo
.LBB2_28:
	s_or_b32 exec_lo, exec_lo, s8
	v_mov_b32_e32 v0, s9
	s_and_not1_b32 s1, s6, exec_lo
	s_and_b32 s0, s0, exec_lo
	s_delay_alu instid0(SALU_CYCLE_1)
	s_or_b32 s6, s1, s0
.LBB2_29:
	s_or_b32 exec_lo, exec_lo, s7
	s_and_saveexec_b32 s0, s6
	s_cbranch_execz .LBB2_31
; %bb.30:
	v_dual_mov_b32 v1, 0 :: v_dual_add_nc_u32 v0, v0, v2
	ds_store_b32 v1, v0 offset:16560
.LBB2_31:
	s_or_b32 exec_lo, exec_lo, s0
.LBB2_32:
	s_delay_alu instid0(SALU_CYCLE_1)
	s_or_b32 exec_lo, exec_lo, s5
	v_cmp_eq_u32_e64 s42, 0, v9
	s_waitcnt lgkmcnt(0)
	s_barrier
	buffer_gl0_inv
	s_and_saveexec_b32 s0, s42
	s_cbranch_execz .LBB2_34
; %bb.33:
	v_mov_b32_e32 v2, 0
	ds_load_b32 v3, v2 offset:16560
	ds_load_b64 v[0:1], v2 offset:16512
	s_waitcnt lgkmcnt(1)
	v_mul_lo_u32 v4, 0x180, v3
	v_mul_hi_i32 v3, 0x180, v3
	s_waitcnt lgkmcnt(0)
	s_delay_alu instid0(VALU_DEP_2) | instskip(NEXT) | instid1(VALU_DEP_2)
	v_add_co_u32 v0, vcc_lo, v0, v4
	v_add_co_ci_u32_e32 v1, vcc_lo, v1, v3, vcc_lo
	flat_load_b64 v[0:1], v[0:1] offset:464
	ds_store_b32 v2, v2 offset:16564
	s_waitcnt vmcnt(0) lgkmcnt(1)
	ds_store_b64 v2, v[0:1] offset:17040
.LBB2_34:
	s_or_b32 exec_lo, exec_lo, s0
	s_and_b32 s44, 0xffff, s4
	s_mov_b32 s0, 0
                                        ; implicit-def: $vgpr0_vgpr1
                                        ; implicit-def: $vgpr2
	s_mov_b32 s1, exec_lo
	v_cmpx_lt_i32_e32 0, v10
	s_xor_b32 s6, exec_lo, s1
	s_cbranch_execz .LBB2_66
; %bb.35:
	s_mov_b32 s0, exec_lo
	v_cmpx_ne_u32_e32 1, v10
	s_xor_b32 s7, exec_lo, s0
	s_cbranch_execz .LBB2_70
; %bb.36:
	v_subrev_nc_u32_e32 v17, 64, v9
	v_mul_u32_u24_e32 v12, 0x810, v10
	v_mov_b32_e32 v16, 0
	s_sub_i32 s8, s44, 64
	s_add_u32 s9, s36, 48
	v_lshrrev_b16 v0, 11, v17
	s_addc_u32 s10, s37, 0
	s_mov_b32 s11, 0
	s_mov_b32 s2, s41
	s_delay_alu instid0(VALU_DEP_1) | instskip(NEXT) | instid1(VALU_DEP_1)
	v_add_nc_u16 v0, v17, v0
	v_and_b32_e32 v0, 0xffffffe0, v0
	s_delay_alu instid0(VALU_DEP_1) | instskip(NEXT) | instid1(VALU_DEP_1)
	v_sub_nc_u16 v11, v17, v0
	v_and_b32_e32 v0, 0xffff, v11
	v_add_nc_u16 v13, v11, 32
	s_delay_alu instid0(VALU_DEP_2)
	v_lshlrev_b32_e64 v14, v0, 1
	v_bfm_b32 v15, v0, 0
                                        ; implicit-def: $vgpr0_vgpr1_vgpr2_vgpr3
	s_branch .LBB2_39
.LBB2_37:                               ;   in Loop: Header=BB2_39 Depth=1
	s_or_b32 exec_lo, exec_lo, s5
	v_mov_b32_e32 v4, v17
	s_mov_b32 s5, s2
.LBB2_38:                               ;   in Loop: Header=BB2_39 Depth=1
	s_delay_alu instid0(VALU_DEP_1)
	v_mov_b32_e32 v17, v4
	s_and_b32 vcc_lo, exec_lo, s1
	s_mov_b32 s2, s5
	s_cbranch_vccnz .LBB2_70
.LBB2_39:                               ; =>This Inner Loop Header: Depth=1
	s_ashr_i32 s3, s2, 31
	s_delay_alu instid0(SALU_CYCLE_1)
	s_lshl_b64 s[0:1], s[2:3], 4
	s_mov_b32 s3, exec_lo
	s_add_u32 s4, s9, s0
	s_addc_u32 s5, s10, s1
	s_load_b64 s[0:1], s[4:5], 0x8
	s_waitcnt lgkmcnt(0)
	v_and_b32_e32 v4, s0, v14
	s_delay_alu instid0(VALU_DEP_1)
	v_cmpx_ne_u32_e32 0, v4
	s_cbranch_execz .LBB2_41
; %bb.40:                               ;   in Loop: Header=BB2_39 Depth=1
	v_and_b32_e32 v4, s0, v15
	s_delay_alu instid0(VALU_DEP_1)
	v_bcnt_u32_b32 v4, v4, v12
	ds_store_b8 v4, v11
.LBB2_41:                               ;   in Loop: Header=BB2_39 Depth=1
	s_or_b32 exec_lo, exec_lo, s3
	s_load_b64 s[4:5], s[4:5], 0x0
	v_and_b32_e32 v4, s1, v14
	s_bcnt1_i32_b32 s0, s0
	s_mov_b32 s3, exec_lo
	s_delay_alu instid0(VALU_DEP_1)
	v_cmpx_ne_u32_e32 0, v4
	s_cbranch_execz .LBB2_43
; %bb.42:                               ;   in Loop: Header=BB2_39 Depth=1
	v_and_b32_e32 v4, s1, v15
	s_delay_alu instid0(VALU_DEP_1) | instskip(NEXT) | instid1(VALU_DEP_1)
	v_bcnt_u32_b32 v4, v4, 0
	v_add3_u32 v4, v12, s0, v4
	ds_store_b8 v4, v13
.LBB2_43:                               ;   in Loop: Header=BB2_39 Depth=1
	s_or_b32 exec_lo, exec_lo, s3
	s_bcnt1_i32_b32 s12, s1
	s_waitcnt lgkmcnt(0)
	s_bfe_u32 s3, s4, 0x2000f
	s_add_i32 s12, s12, s0
	s_cmp_lt_i32 s3, 1
	s_cbranch_scc1 .LBB2_46
; %bb.44:                               ;   in Loop: Header=BB2_39 Depth=1
	s_cmp_lg_u32 s3, 1
	s_cbranch_scc0 .LBB2_47
; %bb.45:                               ;   in Loop: Header=BB2_39 Depth=1
	v_mul_u32_u24_e64 v4, s12, 20
	s_mov_b32 s1, 20
	s_movk_i32 s13, 0x140
	s_cbranch_execz .LBB2_48
	s_branch .LBB2_49
.LBB2_46:                               ;   in Loop: Header=BB2_39 Depth=1
                                        ; implicit-def: $vgpr4
                                        ; implicit-def: $sgpr13
                                        ; implicit-def: $sgpr1
	s_branch .LBB2_50
.LBB2_47:                               ;   in Loop: Header=BB2_39 Depth=1
                                        ; implicit-def: $vgpr4
                                        ; implicit-def: $sgpr13
                                        ; implicit-def: $sgpr1
.LBB2_48:                               ;   in Loop: Header=BB2_39 Depth=1
	s_lshl_b32 s0, s12, 3
	s_mov_b32 s1, 8
	v_mov_b32_e32 v4, s0
	s_movk_i32 s13, 0x80
.LBB2_49:                               ;   in Loop: Header=BB2_39 Depth=1
	s_cbranch_execnz .LBB2_51
.LBB2_50:                               ;   in Loop: Header=BB2_39 Depth=1
	s_lshl_b32 s0, s12, 2
	s_mov_b32 s13, 64
	v_mov_b32_e32 v4, s0
	s_mov_b32 s1, 4
.LBB2_51:                               ;   in Loop: Header=BB2_39 Depth=1
	v_cmp_eq_u32_e64 s0, 0, v17
	s_delay_alu instid0(VALU_DEP_1)
	s_and_saveexec_b32 s14, s0
	s_cbranch_execz .LBB2_53
; %bb.52:                               ;   in Loop: Header=BB2_39 Depth=1
	v_mov_b32_e32 v5, s13
	ds_store_b32 v16, v5 offset:17072
	s_or_b32 exec_lo, exec_lo, s14
	s_delay_alu instid0(SALU_CYCLE_1)
	s_mov_b32 s14, exec_lo
	v_cmpx_lt_i32_e64 v17, v4
	s_cbranch_execz .LBB2_61
	s_branch .LBB2_54
.LBB2_53:                               ;   in Loop: Header=BB2_39 Depth=1
	s_or_b32 exec_lo, exec_lo, s14
	s_delay_alu instid0(SALU_CYCLE_1)
	s_mov_b32 s14, exec_lo
	v_cmpx_lt_i32_e64 v17, v4
	s_cbranch_execz .LBB2_61
.LBB2_54:                               ;   in Loop: Header=BB2_39 Depth=1
	v_cvt_f32_u32_e32 v4, s1
	s_sub_i32 s15, 0, s1
	v_sub_nc_u32_e32 v6, 0, v17
	s_delay_alu instid0(VALU_DEP_2) | instskip(NEXT) | instid1(VALU_DEP_1)
	v_rcp_iflag_f32_e32 v4, v4
	v_max_i32_e32 v6, v17, v6
	s_waitcnt_depctr 0xfff
	v_mul_f32_e32 v4, 0x4f7ffffe, v4
	s_delay_alu instid0(VALU_DEP_1) | instskip(NEXT) | instid1(VALU_DEP_1)
	v_cvt_u32_f32_e32 v4, v4
	v_mul_lo_u32 v5, s15, v4
	s_delay_alu instid0(VALU_DEP_1) | instskip(NEXT) | instid1(VALU_DEP_1)
	v_mul_hi_u32 v5, v4, v5
	v_add_nc_u32_e32 v4, v4, v5
	s_delay_alu instid0(VALU_DEP_1) | instskip(NEXT) | instid1(VALU_DEP_1)
	v_mul_hi_u32 v4, v6, v4
	v_mul_lo_u32 v5, v4, s1
	s_delay_alu instid0(VALU_DEP_1) | instskip(SKIP_1) | instid1(VALU_DEP_2)
	v_sub_nc_u32_e32 v5, v6, v5
	v_add_nc_u32_e32 v6, 1, v4
	v_subrev_nc_u32_e32 v7, s1, v5
	v_cmp_le_u32_e32 vcc_lo, s1, v5
	s_delay_alu instid0(VALU_DEP_2) | instskip(SKIP_1) | instid1(VALU_DEP_2)
	v_dual_cndmask_b32 v5, v5, v7 :: v_dual_cndmask_b32 v4, v4, v6
	v_ashrrev_i32_e32 v7, 31, v17
	v_cmp_le_u32_e32 vcc_lo, s1, v5
	s_delay_alu instid0(VALU_DEP_3) | instskip(SKIP_2) | instid1(VALU_DEP_1)
	v_add_nc_u32_e32 v6, 1, v4
	ds_load_u8 v5, v16 offset:16536
	v_cndmask_b32_e32 v4, v4, v6, vcc_lo
	v_xor_b32_e32 v4, v4, v7
	s_delay_alu instid0(VALU_DEP_1) | instskip(NEXT) | instid1(VALU_DEP_1)
	v_sub_nc_u32_e32 v18, v4, v7
	v_add_nc_u32_e32 v4, v12, v18
	v_mul_lo_u32 v6, v18, s1
	ds_load_u8 v4, v4
	s_waitcnt lgkmcnt(1)
	v_cmp_ne_u16_e64 s1, 0, v5
	v_sub_nc_u32_e32 v19, v17, v6
	s_delay_alu instid0(VALU_DEP_2)
	s_and_b32 vcc_lo, exec_lo, s1
	s_cbranch_vccz .LBB2_57
; %bb.55:                               ;   in Loop: Header=BB2_39 Depth=1
	s_and_b32 vcc_lo, exec_lo, s1
	s_cbranch_vccz .LBB2_58
.LBB2_56:                               ;   in Loop: Header=BB2_39 Depth=1
	ds_load_b32 v7, v16 offset:16540
	ds_load_b64 v[5:6], v16 offset:16544
	s_waitcnt lgkmcnt(2)
	v_mul_u32_u24_e32 v4, s13, v4
	v_lshlrev_b32_e32 v8, 4, v19
	s_delay_alu instid0(VALU_DEP_1) | instskip(SKIP_1) | instid1(VALU_DEP_1)
	v_add3_u32 v4, v8, s5, v4
	s_waitcnt lgkmcnt(1)
	v_and_b32_e32 v4, v7, v4
	s_waitcnt lgkmcnt(0)
	s_delay_alu instid0(VALU_DEP_1)
	v_add_co_u32 v4, vcc_lo, v5, v4
	v_add_co_ci_u32_e32 v5, vcc_lo, 0, v6, vcc_lo
	flat_load_b128 v[4:7], v[4:5]
	s_cbranch_execz .LBB2_59
	s_branch .LBB2_60
.LBB2_57:                               ;   in Loop: Header=BB2_39 Depth=1
	s_waitcnt lgkmcnt(0)
	v_mul_u32_u24_e32 v0, s13, v4
	v_lshlrev_b32_e32 v1, 4, v19
	s_delay_alu instid0(VALU_DEP_1)
	v_add3_u32 v0, v1, s5, v0
	global_load_b128 v[0:3], v0, s[36:37]
	s_and_b32 vcc_lo, exec_lo, s1
	s_cbranch_vccnz .LBB2_56
.LBB2_58:                               ;   in Loop: Header=BB2_39 Depth=1
                                        ; implicit-def: $vgpr4_vgpr5_vgpr6_vgpr7
                                        ; implicit-def: $vgpr8
.LBB2_59:                               ;   in Loop: Header=BB2_39 Depth=1
	s_waitcnt vmcnt(0) lgkmcnt(0)
	v_dual_mov_b32 v7, v3 :: v_dual_lshlrev_b32 v8, 4, v19
	v_dual_mov_b32 v6, v2 :: v_dual_mov_b32 v5, v1
	v_mov_b32_e32 v4, v0
.LBB2_60:                               ;   in Loop: Header=BB2_39 Depth=1
	s_waitcnt vmcnt(0)
	v_add_nc_u32_e32 v0, s11, v18
	s_delay_alu instid0(VALU_DEP_1)
	v_mad_u64_u32 v[18:19], null, v0, s13, v[8:9]
	s_waitcnt lgkmcnt(0)
	v_dual_mov_b32 v0, v4 :: v_dual_mov_b32 v3, v7
	v_dual_mov_b32 v1, v5 :: v_dual_mov_b32 v2, v6
	ds_store_b128 v18, v[4:7] offset:20176
.LBB2_61:                               ;   in Loop: Header=BB2_39 Depth=1
	s_or_b32 exec_lo, exec_lo, s14
	s_bitcmp0_b32 s4, 14
	s_cselect_b32 s1, -1, 0
	s_delay_alu instid0(SALU_CYCLE_1)
	s_and_b32 vcc_lo, exec_lo, s1
	s_cbranch_vccnz .LBB2_63
; %bb.62:                               ;   in Loop: Header=BB2_39 Depth=1
	v_cmp_gt_i32_e32 vcc_lo, 64, v17
	s_and_b32 s5, s4, 0x3fff
	s_delay_alu instid0(SALU_CYCLE_1) | instskip(SKIP_1) | instid1(VALU_DEP_1)
	s_add_i32 s5, s5, s2
	v_cndmask_b32_e64 v4, 0, s8, vcc_lo
	v_add3_u32 v4, v17, v4, 0xffffffc0
	s_add_i32 s11, s12, s11
	s_cbranch_execnz .LBB2_38
	s_branch .LBB2_64
.LBB2_63:                               ;   in Loop: Header=BB2_39 Depth=1
                                        ; implicit-def: $vgpr4
                                        ; implicit-def: $sgpr5
	s_add_i32 s11, s12, s11
.LBB2_64:                               ;   in Loop: Header=BB2_39 Depth=1
	s_and_saveexec_b32 s5, s0
	s_cbranch_execz .LBB2_37
; %bb.65:                               ;   in Loop: Header=BB2_39 Depth=1
	s_and_b32 s0, s4, 0x3fff
	v_dual_mov_b32 v6, s3 :: v_dual_mov_b32 v7, s11
	s_add_i32 s12, s0, s2
	s_cmp_lg_u32 s0, 0
	v_mov_b32_e32 v17, 0
	s_cselect_b32 s0, s12, -1
	s_delay_alu instid0(SALU_CYCLE_1) | instskip(SKIP_1) | instid1(SALU_CYCLE_1)
	v_dual_mov_b32 v4, s2 :: v_dual_mov_b32 v5, s0
	s_lshr_b32 s0, s4, 17
	v_mov_b32_e32 v8, s0
	ds_store_b64 v16, v[4:5] offset:17056
	ds_store_b8 v16, v6 offset:17064
	ds_store_b32 v16, v7 offset:17068
	ds_store_b16 v16, v8 offset:17066
	s_branch .LBB2_37
.LBB2_66:
	s_and_not1_saveexec_b32 s1, s6
	s_cbranch_execz .LBB2_75
.LBB2_67:
	s_mov_b32 s3, s0
	s_mov_b32 s2, exec_lo
                                        ; implicit-def: $vgpr0_vgpr1
                                        ; implicit-def: $vgpr2
	v_cmpx_gt_u32_e32 6, v9
	s_cbranch_execz .LBB2_69
; %bb.68:
	v_mov_b32_e32 v0, 0
	v_lshlrev_b32_e32 v2, 4, v9
	s_or_b32 s3, s0, exec_lo
	ds_load_b64 v[0:1], v0 offset:16512
	s_waitcnt lgkmcnt(0)
	v_add_co_u32 v0, vcc_lo, v0, v2
	v_add_co_ci_u32_e32 v1, vcc_lo, 0, v1, vcc_lo
	v_add_nc_u32_e32 v2, 0x40c0, v2
.LBB2_69:
	s_or_b32 exec_lo, exec_lo, s2
	s_delay_alu instid0(SALU_CYCLE_1) | instskip(SKIP_1) | instid1(SALU_CYCLE_1)
	s_and_not1_b32 s0, s0, exec_lo
	s_and_b32 s2, s3, exec_lo
	s_or_b32 s0, s0, s2
	s_or_b32 exec_lo, exec_lo, s1
	s_and_saveexec_b32 s1, s0
	s_cbranch_execnz .LBB2_76
	s_branch .LBB2_77
.LBB2_70:
	s_or_saveexec_b32 s0, s7
	s_mov_b32 s1, 0
                                        ; implicit-def: $vgpr0_vgpr1
                                        ; implicit-def: $vgpr2
	s_xor_b32 exec_lo, exec_lo, s0
	s_cbranch_execz .LBB2_74
; %bb.71:
	s_mov_b32 s2, exec_lo
                                        ; implicit-def: $vgpr0_vgpr1
                                        ; implicit-def: $vgpr2
	v_cmpx_gt_u32_e32 56, v9
	s_xor_b32 s2, exec_lo, s2
	s_cbranch_execz .LBB2_73
; %bb.72:
	v_lshlrev_b32_e32 v4, 4, v9
	v_mov_b32_e32 v0, 0
	s_mov_b32 s1, exec_lo
	s_delay_alu instid0(VALU_DEP_2)
	v_add_nc_u32_e32 v5, 0xfffffe00, v4
	ds_load_b32 v2, v0 offset:16560
	ds_load_b64 v[0:1], v0 offset:16512
	s_waitcnt lgkmcnt(1)
	v_mul_lo_u32 v3, 0x180, v2
	v_mul_hi_i32 v2, 0x180, v2
	s_waitcnt lgkmcnt(0)
	s_delay_alu instid0(VALU_DEP_2) | instskip(NEXT) | instid1(VALU_DEP_2)
	v_add_co_u32 v0, vcc_lo, v0, v3
	v_add_co_ci_u32_e32 v1, vcc_lo, v1, v2, vcc_lo
	v_ashrrev_i32_e32 v2, 31, v5
	s_delay_alu instid0(VALU_DEP_3) | instskip(NEXT) | instid1(VALU_DEP_3)
	v_add_co_u32 v0, vcc_lo, 0x60, v0
	v_add_co_ci_u32_e32 v1, vcc_lo, 0, v1, vcc_lo
	s_delay_alu instid0(VALU_DEP_2) | instskip(NEXT) | instid1(VALU_DEP_2)
	v_add_co_u32 v0, vcc_lo, v0, v5
	v_add_co_ci_u32_e32 v1, vcc_lo, v1, v2, vcc_lo
	v_add_nc_u32_e32 v2, 0x3f20, v4
.LBB2_73:
	s_or_b32 exec_lo, exec_lo, s2
	s_delay_alu instid0(SALU_CYCLE_1)
	s_and_b32 s1, s1, exec_lo
.LBB2_74:
	s_or_b32 exec_lo, exec_lo, s0
	s_delay_alu instid0(SALU_CYCLE_1)
	s_and_b32 s0, s1, exec_lo
	s_and_not1_saveexec_b32 s1, s6
	s_cbranch_execnz .LBB2_67
.LBB2_75:
	s_or_b32 exec_lo, exec_lo, s1
	s_and_saveexec_b32 s1, s0
	s_cbranch_execz .LBB2_77
.LBB2_76:
	flat_load_b64 v[3:4], v[0:1]
	s_waitcnt vmcnt(0) lgkmcnt(0)
	ds_store_b64 v2, v[3:4]
	flat_load_b64 v[0:1], v[0:1] offset:8
	s_waitcnt vmcnt(0) lgkmcnt(0)
	ds_store_b64 v2, v[0:1] offset:8
.LBB2_77:
	s_or_b32 exec_lo, exec_lo, s1
	v_mov_b32_e32 v41, 0
	s_waitcnt lgkmcnt(0)
	s_barrier
	buffer_gl0_inv
	ds_load_b32 v0, v41 offset:16564
	s_waitcnt lgkmcnt(0)
	v_cmp_ne_u32_e32 vcc_lo, 0, v0
	s_cbranch_vccz .LBB2_90
.LBB2_78:
	s_and_saveexec_b32 s0, s42
	s_cbranch_execz .LBB2_89
; %bb.79:
	v_mov_b32_e32 v6, 0
	ds_load_b32 v7, v6 offset:17068
	ds_load_b64 v[2:3], v6 offset:17040
	s_waitcnt lgkmcnt(1)
	v_ashrrev_i32_e32 v5, 31, v7
	s_waitcnt lgkmcnt(0)
	v_add_co_u32 v0, vcc_lo, v2, 1
	v_add_co_ci_u32_e32 v1, vcc_lo, 0, v3, vcc_lo
	v_add_co_u32 v4, vcc_lo, v2, v7
	v_add_co_ci_u32_e32 v5, vcc_lo, v3, v5, vcc_lo
	s_delay_alu instid0(VALU_DEP_1)
	v_cmp_gt_u64_e32 vcc_lo, v[0:1], v[4:5]
	s_cbranch_vccnz .LBB2_88
; %bb.80:
	ds_load_u8 v8, v6 offset:17064
	s_movk_i32 s0, 0x4f0e
	s_movk_i32 s1, 0x4eda
	s_branch .LBB2_82
.LBB2_81:                               ;   in Loop: Header=BB2_82 Depth=1
	s_waitcnt lgkmcnt(0)
	v_ashrrev_i32_e32 v5, 31, v7
	v_add_co_u32 v0, vcc_lo, v0, 1
	v_add_co_ci_u32_e32 v1, vcc_lo, 0, v1, vcc_lo
	v_add_co_u32 v4, vcc_lo, v2, v7
	s_delay_alu instid0(VALU_DEP_4) | instskip(SKIP_2) | instid1(VALU_DEP_1)
	v_add_co_ci_u32_e32 v5, vcc_lo, v3, v5, vcc_lo
	s_add_i32 s0, s0, 64
	s_addk_i32 s1, 0x80
	v_cmp_le_u64_e32 vcc_lo, v[0:1], v[4:5]
	s_cbranch_vccz .LBB2_88
.LBB2_82:                               ; =>This Inner Loop Header: Depth=1
	s_waitcnt lgkmcnt(0)
	v_and_b32_e32 v4, 0xff, v8
	s_delay_alu instid0(VALU_DEP_1)
	v_cmp_ne_u16_e32 vcc_lo, 0, v4
	s_cbranch_vccz .LBB2_87
; %bb.83:                               ;   in Loop: Header=BB2_82 Depth=1
	v_mov_b32_e32 v4, s1
	ds_load_u8 v4, v4
	s_waitcnt lgkmcnt(0)
	v_and_b32_e32 v4, 1, v4
	s_cbranch_execnz .LBB2_85
.LBB2_84:                               ;   in Loop: Header=BB2_82 Depth=1
	v_mov_b32_e32 v4, s0
	ds_load_u16 v4, v4
	s_waitcnt lgkmcnt(0)
	v_bfe_u32 v4, v4, 6, 1
.LBB2_85:                               ;   in Loop: Header=BB2_82 Depth=1
	s_delay_alu instid0(VALU_DEP_1)
	v_cmp_eq_u32_e32 vcc_lo, 0, v4
	s_cbranch_vccnz .LBB2_81
; %bb.86:                               ;   in Loop: Header=BB2_82 Depth=1
	s_sendmsg_rtn_b64 s[2:3], sendmsg(MSG_RTN_GET_REALTIME)
	ds_load_u8 v8, v6 offset:17064
	ds_load_b32 v2, v6 offset:16560
	ds_load_b64 v[4:5], v6 offset:16664
	v_and_b32_e32 v7, 63, v0
	s_waitcnt lgkmcnt(0)
	v_ashrrev_i32_e32 v3, 31, v2
	s_delay_alu instid0(VALU_DEP_1) | instskip(NEXT) | instid1(VALU_DEP_3)
	v_lshlrev_b64 v[9:10], 10, v[2:3]
	v_dual_mov_b32 v2, s2 :: v_dual_lshlrev_b32 v7, 4, v7
	v_mov_b32_e32 v3, s3
	s_delay_alu instid0(VALU_DEP_3) | instskip(NEXT) | instid1(VALU_DEP_4)
	v_add_co_u32 v4, vcc_lo, v4, v9
	v_add_co_ci_u32_e32 v5, vcc_lo, v5, v10, vcc_lo
	s_delay_alu instid0(VALU_DEP_2) | instskip(NEXT) | instid1(VALU_DEP_2)
	v_add_co_u32 v4, vcc_lo, v4, v7
	v_add_co_ci_u32_e32 v5, vcc_lo, 0, v5, vcc_lo
	flat_store_b128 v[4:5], v[0:3]
	ds_load_b64 v[2:3], v6 offset:17040
	ds_load_b32 v7, v6 offset:17068
	s_branch .LBB2_81
.LBB2_87:                               ;   in Loop: Header=BB2_82 Depth=1
                                        ; implicit-def: $vgpr4
	s_branch .LBB2_84
.LBB2_88:
	v_mov_b32_e32 v2, 0
	ds_load_b32 v3, v2 offset:16560
	ds_load_b64 v[0:1], v2 offset:16512
	ds_store_b64 v2, v[4:5] offset:17040
	s_waitcnt lgkmcnt(2)
	v_mul_lo_u32 v6, 0x180, v3
	v_mul_hi_i32 v3, 0x180, v3
	s_waitcnt lgkmcnt(1)
	s_delay_alu instid0(VALU_DEP_2) | instskip(NEXT) | instid1(VALU_DEP_2)
	v_add_co_u32 v0, vcc_lo, v0, v6
	v_add_co_ci_u32_e32 v1, vcc_lo, v1, v3, vcc_lo
	flat_store_b64 v[0:1], v[4:5] offset:464
.LBB2_89:
	s_endpgm
.LBB2_90:
	v_and_b32_e32 v43, 31, v9
	v_cmp_eq_u32_e32 vcc_lo, 1, v10
	v_cmp_gt_u32_e64 s0, 40, v9
	s_movk_i32 s1, 0x160
	v_cmp_eq_u32_e64 s43, 32, v9
	v_mad_u32_u24 v44, v9, s1, 0x17d8
	v_mul_u32_u24_e32 v45, 0x810, v10
	v_lshlrev_b32_e64 v46, v9, 1
	v_bfm_b32 v47, v43, 0
	v_or_b32_e32 v56, 32, v43
	s_and_b32 s45, s0, vcc_lo
	s_add_u32 s46, s36, 48
	s_addc_u32 s47, s37, 0
	s_branch .LBB2_92
.LBB2_91:                               ;   in Loop: Header=BB2_92 Depth=1
	s_waitcnt lgkmcnt(0)
	s_waitcnt_vscnt null, 0x0
	s_barrier
	buffer_gl0_inv
	ds_load_b32 v0, v41 offset:16564
	s_waitcnt lgkmcnt(0)
	v_cmp_ne_u32_e64 s0, 0, v0
	s_delay_alu instid0(VALU_DEP_1)
	s_and_b32 vcc_lo, exec_lo, s0
	s_cbranch_vccnz .LBB2_78
.LBB2_92:                               ; =>This Loop Header: Depth=1
                                        ;     Child Loop BB2_96 Depth 2
                                        ;     Child Loop BB2_587 Depth 2
	;; [unrolled: 1-line block ×3, first 2 shown]
	s_and_saveexec_b32 s0, s42
	s_cbranch_execz .LBB2_102
; %bb.93:                               ;   in Loop: Header=BB2_92 Depth=1
	ds_load_b32 v4, v41 offset:17068
	ds_load_b64 v[2:3], v41 offset:17040
	s_waitcnt lgkmcnt(1)
	v_ashrrev_i32_e32 v6, 31, v4
	s_waitcnt lgkmcnt(0)
	v_add_co_u32 v0, vcc_lo, v2, 1
	v_add_co_ci_u32_e32 v1, vcc_lo, 0, v3, vcc_lo
	v_add_co_u32 v5, vcc_lo, v2, v4
	v_add_co_ci_u32_e32 v6, vcc_lo, v3, v6, vcc_lo
	s_delay_alu instid0(VALU_DEP_1)
	v_cmp_gt_u64_e32 vcc_lo, v[0:1], v[5:6]
	s_cbranch_vccnz .LBB2_102
; %bb.94:                               ;   in Loop: Header=BB2_92 Depth=1
	ds_load_u8 v5, v41 offset:17064
	s_movk_i32 s1, 0x4f0e
	s_movk_i32 s2, 0x4eda
	s_branch .LBB2_96
.LBB2_95:                               ;   in Loop: Header=BB2_96 Depth=2
	s_waitcnt lgkmcnt(0)
	v_ashrrev_i32_e32 v7, 31, v4
	v_add_co_u32 v0, vcc_lo, v0, 1
	v_add_co_ci_u32_e32 v1, vcc_lo, 0, v1, vcc_lo
	v_add_co_u32 v6, vcc_lo, v2, v4
	s_delay_alu instid0(VALU_DEP_4) | instskip(SKIP_2) | instid1(VALU_DEP_1)
	v_add_co_ci_u32_e32 v7, vcc_lo, v3, v7, vcc_lo
	s_add_i32 s1, s1, 64
	s_addk_i32 s2, 0x80
	v_cmp_le_u64_e32 vcc_lo, v[0:1], v[6:7]
	s_cbranch_vccz .LBB2_102
.LBB2_96:                               ;   Parent Loop BB2_92 Depth=1
                                        ; =>  This Inner Loop Header: Depth=2
	s_waitcnt lgkmcnt(0)
	v_and_b32_e32 v6, 0xff, v5
	s_delay_alu instid0(VALU_DEP_1)
	v_cmp_ne_u16_e32 vcc_lo, 0, v6
	s_cbranch_vccz .LBB2_101
; %bb.97:                               ;   in Loop: Header=BB2_96 Depth=2
	v_mov_b32_e32 v6, s2
	ds_load_u8 v6, v6
	s_waitcnt lgkmcnt(0)
	v_and_b32_e32 v6, 1, v6
	s_cbranch_execnz .LBB2_99
.LBB2_98:                               ;   in Loop: Header=BB2_96 Depth=2
	v_mov_b32_e32 v6, s1
	ds_load_u16 v6, v6
	s_waitcnt lgkmcnt(0)
	v_bfe_u32 v6, v6, 6, 1
.LBB2_99:                               ;   in Loop: Header=BB2_96 Depth=2
	s_delay_alu instid0(VALU_DEP_1)
	v_cmp_eq_u32_e32 vcc_lo, 0, v6
	s_cbranch_vccnz .LBB2_95
; %bb.100:                              ;   in Loop: Header=BB2_96 Depth=2
	s_sendmsg_rtn_b64 s[4:5], sendmsg(MSG_RTN_GET_REALTIME)
	ds_load_u8 v5, v41 offset:17064
	ds_load_b32 v2, v41 offset:16560
	ds_load_b64 v[6:7], v41 offset:16656
	v_and_b32_e32 v8, 63, v0
	s_waitcnt lgkmcnt(0)
	v_ashrrev_i32_e32 v3, 31, v2
	s_delay_alu instid0(VALU_DEP_1) | instskip(SKIP_1) | instid1(VALU_DEP_2)
	v_lshlrev_b64 v[3:4], 10, v[2:3]
	v_mov_b32_e32 v2, s4
	v_add_co_u32 v6, vcc_lo, v6, v3
	v_dual_mov_b32 v3, s5 :: v_dual_lshlrev_b32 v8, 4, v8
	s_delay_alu instid0(VALU_DEP_4) | instskip(NEXT) | instid1(VALU_DEP_2)
	v_add_co_ci_u32_e32 v4, vcc_lo, v7, v4, vcc_lo
	v_add_co_u32 v6, vcc_lo, v6, v8
	s_delay_alu instid0(VALU_DEP_2)
	v_add_co_ci_u32_e32 v7, vcc_lo, 0, v4, vcc_lo
	flat_store_b128 v[6:7], v[0:3]
	ds_load_b64 v[2:3], v41 offset:17040
	ds_load_b32 v4, v41 offset:17068
	s_branch .LBB2_95
.LBB2_101:                              ;   in Loop: Header=BB2_96 Depth=2
                                        ; implicit-def: $vgpr6
	s_branch .LBB2_98
.LBB2_102:                              ;   in Loop: Header=BB2_92 Depth=1
	s_or_b32 exec_lo, exec_lo, s0
	ds_load_u16 v0, v41 offset:17066
	s_mov_b32 s0, -1
	s_waitcnt lgkmcnt(0)
	v_cmp_lt_u32_e32 vcc_lo, 0x58, v0
	v_readfirstlane_b32 s48, v0
	s_cbranch_vccz .LBB2_267
; %bb.103:                              ;   in Loop: Header=BB2_92 Depth=1
	s_delay_alu instid0(VALU_DEP_1)
	s_cmpk_gt_u32 s48, 0x85
	s_cbranch_scc0 .LBB2_182
; %bb.104:                              ;   in Loop: Header=BB2_92 Depth=1
	s_cmpk_gt_u32 s48, 0x9b
	s_cbranch_scc0 .LBB2_144
; %bb.105:                              ;   in Loop: Header=BB2_92 Depth=1
	;; [unrolled: 3-line block ×6, first 2 shown]
	v_mov_b32_e32 v31, v40
	s_add_u32 s8, s36, 0x1000
	s_addc_u32 s9, s37, 0
	s_mov_b64 s[4:5], s[38:39]
	s_mov_b64 s[10:11], s[34:35]
	s_mov_b32 s12, s41
	s_mov_b32 s13, s40
	s_mov_b32 s14, s33
	s_getpc_b64 s[0:1]
	s_add_u32 s0, s0, _Z50ncclDevFunc_AlltoAllPivot_RING_SIMPLE_Sum_i8_0_0_4v@rel32@lo+4
	s_addc_u32 s1, s1, _Z50ncclDevFunc_AlltoAllPivot_RING_SIMPLE_Sum_i8_0_0_4v@rel32@hi+12
	s_delay_alu instid0(SALU_CYCLE_1)
	s_swappc_b64 s[30:31], s[0:1]
	s_mov_b32 s0, 0
.LBB2_110:                              ;   in Loop: Header=BB2_92 Depth=1
	s_delay_alu instid0(SALU_CYCLE_1)
	s_and_not1_b32 vcc_lo, exec_lo, s0
	s_cbranch_vccnz .LBB2_112
; %bb.111:                              ;   in Loop: Header=BB2_92 Depth=1
	v_mov_b32_e32 v31, v40
	s_add_u32 s8, s36, 0x1000
	s_addc_u32 s9, s37, 0
	s_mov_b64 s[4:5], s[38:39]
	s_mov_b64 s[10:11], s[34:35]
	s_mov_b32 s12, s41
	s_mov_b32 s13, s40
	;; [unrolled: 1-line block ×3, first 2 shown]
	s_getpc_b64 s[0:1]
	s_add_u32 s0, s0, _Z45ncclDevFunc_SendRecv_RING_SIMPLE_Sum_i8_0_0_4v@rel32@lo+4
	s_addc_u32 s1, s1, _Z45ncclDevFunc_SendRecv_RING_SIMPLE_Sum_i8_0_0_4v@rel32@hi+12
	s_delay_alu instid0(SALU_CYCLE_1)
	s_swappc_b64 s[30:31], s[0:1]
.LBB2_112:                              ;   in Loop: Header=BB2_92 Depth=1
	s_mov_b32 s0, 0
.LBB2_113:                              ;   in Loop: Header=BB2_92 Depth=1
	s_delay_alu instid0(SALU_CYCLE_1)
	s_and_not1_b32 vcc_lo, exec_lo, s0
	s_cbranch_vccnz .LBB2_118
; %bb.114:                              ;   in Loop: Header=BB2_92 Depth=1
	s_cmpk_lg_i32 s48, 0xad
	s_mov_b32 s0, -1
	s_cbranch_scc0 .LBB2_116
; %bb.115:                              ;   in Loop: Header=BB2_92 Depth=1
	v_mov_b32_e32 v31, v40
	s_add_u32 s8, s36, 0x1000
	s_addc_u32 s9, s37, 0
	s_mov_b64 s[4:5], s[38:39]
	s_mov_b64 s[10:11], s[34:35]
	s_mov_b32 s12, s41
	s_mov_b32 s13, s40
	s_mov_b32 s14, s33
	s_getpc_b64 s[0:1]
	s_add_u32 s0, s0, _Z54ncclDevFunc_AllReduce_RING_SIMPLE_SumPostDiv_u64_0_0_4v@rel32@lo+4
	s_addc_u32 s1, s1, _Z54ncclDevFunc_AllReduce_RING_SIMPLE_SumPostDiv_u64_0_0_4v@rel32@hi+12
	s_delay_alu instid0(SALU_CYCLE_1)
	s_swappc_b64 s[30:31], s[0:1]
	s_mov_b32 s0, 0
.LBB2_116:                              ;   in Loop: Header=BB2_92 Depth=1
	s_delay_alu instid0(SALU_CYCLE_1)
	s_and_not1_b32 vcc_lo, exec_lo, s0
	s_cbranch_vccnz .LBB2_118
; %bb.117:                              ;   in Loop: Header=BB2_92 Depth=1
	v_mov_b32_e32 v31, v40
	s_add_u32 s8, s36, 0x1000
	s_addc_u32 s9, s37, 0
	s_mov_b64 s[4:5], s[38:39]
	s_mov_b64 s[10:11], s[34:35]
	s_mov_b32 s12, s41
	s_mov_b32 s13, s40
	;; [unrolled: 1-line block ×3, first 2 shown]
	s_getpc_b64 s[0:1]
	s_add_u32 s0, s0, _Z54ncclDevFunc_AllReduce_RING_SIMPLE_SumPostDiv_u32_0_0_4v@rel32@lo+4
	s_addc_u32 s1, s1, _Z54ncclDevFunc_AllReduce_RING_SIMPLE_SumPostDiv_u32_0_0_4v@rel32@hi+12
	s_delay_alu instid0(SALU_CYCLE_1)
	s_swappc_b64 s[30:31], s[0:1]
.LBB2_118:                              ;   in Loop: Header=BB2_92 Depth=1
	s_mov_b32 s0, 0
.LBB2_119:                              ;   in Loop: Header=BB2_92 Depth=1
	s_delay_alu instid0(SALU_CYCLE_1)
	s_and_not1_b32 vcc_lo, exec_lo, s0
	s_cbranch_vccnz .LBB2_127
; %bb.120:                              ;   in Loop: Header=BB2_92 Depth=1
	s_cmpk_gt_u32 s48, 0xa9
	s_mov_b32 s0, -1
	s_cbranch_scc0 .LBB2_122
; %bb.121:                              ;   in Loop: Header=BB2_92 Depth=1
	v_mov_b32_e32 v31, v40
	s_add_u32 s8, s36, 0x1000
	s_addc_u32 s9, s37, 0
	s_mov_b64 s[4:5], s[38:39]
	s_mov_b64 s[10:11], s[34:35]
	s_mov_b32 s12, s41
	s_mov_b32 s13, s40
	;; [unrolled: 1-line block ×3, first 2 shown]
	s_getpc_b64 s[0:1]
	s_add_u32 s0, s0, _Z53ncclDevFunc_AllReduce_RING_SIMPLE_SumPostDiv_u8_0_0_4v@rel32@lo+4
	s_addc_u32 s1, s1, _Z53ncclDevFunc_AllReduce_RING_SIMPLE_SumPostDiv_u8_0_0_4v@rel32@hi+12
	s_delay_alu instid0(SALU_CYCLE_1)
	s_swappc_b64 s[30:31], s[0:1]
	s_mov_b32 s0, 0
.LBB2_122:                              ;   in Loop: Header=BB2_92 Depth=1
	s_delay_alu instid0(SALU_CYCLE_1)
	s_and_not1_b32 vcc_lo, exec_lo, s0
	s_cbranch_vccnz .LBB2_127
; %bb.123:                              ;   in Loop: Header=BB2_92 Depth=1
	s_cmpk_lg_i32 s48, 0xa7
	s_mov_b32 s0, -1
	s_cbranch_scc0 .LBB2_125
; %bb.124:                              ;   in Loop: Header=BB2_92 Depth=1
	v_mov_b32_e32 v31, v40
	s_add_u32 s8, s36, 0x1000
	s_addc_u32 s9, s37, 0
	s_mov_b64 s[4:5], s[38:39]
	s_mov_b64 s[10:11], s[34:35]
	s_mov_b32 s12, s41
	s_mov_b32 s13, s40
	;; [unrolled: 1-line block ×3, first 2 shown]
	s_getpc_b64 s[0:1]
	s_add_u32 s0, s0, _Z56ncclDevFunc_AllReduce_RING_SIMPLE_PreMulSum_f8e5m2_0_0_4v@rel32@lo+4
	s_addc_u32 s1, s1, _Z56ncclDevFunc_AllReduce_RING_SIMPLE_PreMulSum_f8e5m2_0_0_4v@rel32@hi+12
	s_delay_alu instid0(SALU_CYCLE_1)
	s_swappc_b64 s[30:31], s[0:1]
	s_mov_b32 s0, 0
.LBB2_125:                              ;   in Loop: Header=BB2_92 Depth=1
	s_delay_alu instid0(SALU_CYCLE_1)
	s_and_not1_b32 vcc_lo, exec_lo, s0
	s_cbranch_vccnz .LBB2_127
; %bb.126:                              ;   in Loop: Header=BB2_92 Depth=1
	v_mov_b32_e32 v31, v40
	s_add_u32 s8, s36, 0x1000
	s_addc_u32 s9, s37, 0
	s_mov_b64 s[4:5], s[38:39]
	s_mov_b64 s[10:11], s[34:35]
	s_mov_b32 s12, s41
	s_mov_b32 s13, s40
	;; [unrolled: 1-line block ×3, first 2 shown]
	s_getpc_b64 s[0:1]
	s_add_u32 s0, s0, _Z56ncclDevFunc_AllReduce_RING_SIMPLE_PreMulSum_f8e4m3_0_0_4v@rel32@lo+4
	s_addc_u32 s1, s1, _Z56ncclDevFunc_AllReduce_RING_SIMPLE_PreMulSum_f8e4m3_0_0_4v@rel32@hi+12
	s_delay_alu instid0(SALU_CYCLE_1)
	s_swappc_b64 s[30:31], s[0:1]
.LBB2_127:                              ;   in Loop: Header=BB2_92 Depth=1
	s_mov_b32 s0, 0
.LBB2_128:                              ;   in Loop: Header=BB2_92 Depth=1
	s_delay_alu instid0(SALU_CYCLE_1)
	s_and_not1_b32 vcc_lo, exec_lo, s0
	s_cbranch_vccnz .LBB2_143
; %bb.129:                              ;   in Loop: Header=BB2_92 Depth=1
	s_cmpk_gt_u32 s48, 0xa0
	s_mov_b32 s0, -1
	s_cbranch_scc0 .LBB2_138
; %bb.130:                              ;   in Loop: Header=BB2_92 Depth=1
	s_cmpk_gt_u32 s48, 0xa3
	s_cbranch_scc0 .LBB2_132
; %bb.131:                              ;   in Loop: Header=BB2_92 Depth=1
	v_mov_b32_e32 v31, v40
	s_add_u32 s8, s36, 0x1000
	s_addc_u32 s9, s37, 0
	s_mov_b64 s[4:5], s[38:39]
	s_mov_b64 s[10:11], s[34:35]
	s_mov_b32 s12, s41
	s_mov_b32 s13, s40
	;; [unrolled: 1-line block ×3, first 2 shown]
	s_getpc_b64 s[0:1]
	s_add_u32 s0, s0, _Z54ncclDevFunc_AllReduce_RING_SIMPLE_PreMulSum_bf16_0_1_4v@rel32@lo+4
	s_addc_u32 s1, s1, _Z54ncclDevFunc_AllReduce_RING_SIMPLE_PreMulSum_bf16_0_1_4v@rel32@hi+12
	s_delay_alu instid0(SALU_CYCLE_1)
	s_swappc_b64 s[30:31], s[0:1]
	s_mov_b32 s0, 0
.LBB2_132:                              ;   in Loop: Header=BB2_92 Depth=1
	s_delay_alu instid0(SALU_CYCLE_1)
	s_and_not1_b32 vcc_lo, exec_lo, s0
	s_cbranch_vccnz .LBB2_137
; %bb.133:                              ;   in Loop: Header=BB2_92 Depth=1
	s_cmpk_lg_i32 s48, 0xa1
	s_mov_b32 s0, -1
	s_cbranch_scc0 .LBB2_135
; %bb.134:                              ;   in Loop: Header=BB2_92 Depth=1
	v_mov_b32_e32 v31, v40
	s_add_u32 s8, s36, 0x1000
	s_addc_u32 s9, s37, 0
	s_mov_b64 s[4:5], s[38:39]
	s_mov_b64 s[10:11], s[34:35]
	s_mov_b32 s12, s41
	s_mov_b32 s13, s40
	;; [unrolled: 1-line block ×3, first 2 shown]
	s_getpc_b64 s[0:1]
	s_add_u32 s0, s0, _Z54ncclDevFunc_AllReduce_RING_SIMPLE_PreMulSum_bf16_0_0_4v@rel32@lo+4
	s_addc_u32 s1, s1, _Z54ncclDevFunc_AllReduce_RING_SIMPLE_PreMulSum_bf16_0_0_4v@rel32@hi+12
	s_delay_alu instid0(SALU_CYCLE_1)
	s_swappc_b64 s[30:31], s[0:1]
	s_mov_b32 s0, 0
.LBB2_135:                              ;   in Loop: Header=BB2_92 Depth=1
	s_delay_alu instid0(SALU_CYCLE_1)
	s_and_not1_b32 vcc_lo, exec_lo, s0
	s_cbranch_vccnz .LBB2_137
; %bb.136:                              ;   in Loop: Header=BB2_92 Depth=1
	v_mov_b32_e32 v31, v40
	s_add_u32 s8, s36, 0x1000
	s_addc_u32 s9, s37, 0
	s_mov_b64 s[4:5], s[38:39]
	s_mov_b64 s[10:11], s[34:35]
	s_mov_b32 s12, s41
	s_mov_b32 s13, s40
	s_mov_b32 s14, s33
	s_getpc_b64 s[0:1]
	s_add_u32 s0, s0, _Z53ncclDevFunc_AllReduce_RING_SIMPLE_PreMulSum_f64_0_0_4v@rel32@lo+4
	s_addc_u32 s1, s1, _Z53ncclDevFunc_AllReduce_RING_SIMPLE_PreMulSum_f64_0_0_4v@rel32@hi+12
	s_delay_alu instid0(SALU_CYCLE_1)
	s_swappc_b64 s[30:31], s[0:1]
.LBB2_137:                              ;   in Loop: Header=BB2_92 Depth=1
	s_mov_b32 s0, 0
.LBB2_138:                              ;   in Loop: Header=BB2_92 Depth=1
	s_delay_alu instid0(SALU_CYCLE_1)
	s_and_not1_b32 vcc_lo, exec_lo, s0
	s_cbranch_vccnz .LBB2_143
; %bb.139:                              ;   in Loop: Header=BB2_92 Depth=1
	s_cmpk_gt_u32 s48, 0x9d
	s_mov_b32 s0, -1
	s_cbranch_scc0 .LBB2_141
; %bb.140:                              ;   in Loop: Header=BB2_92 Depth=1
	v_mov_b32_e32 v31, v40
	s_add_u32 s8, s36, 0x1000
	s_addc_u32 s9, s37, 0
	s_mov_b64 s[4:5], s[38:39]
	s_mov_b64 s[10:11], s[34:35]
	s_mov_b32 s12, s41
	s_mov_b32 s13, s40
	;; [unrolled: 1-line block ×3, first 2 shown]
	s_getpc_b64 s[0:1]
	s_add_u32 s0, s0, _Z53ncclDevFunc_AllReduce_RING_SIMPLE_PreMulSum_f32_0_0_4v@rel32@lo+4
	s_addc_u32 s1, s1, _Z53ncclDevFunc_AllReduce_RING_SIMPLE_PreMulSum_f32_0_0_4v@rel32@hi+12
	s_delay_alu instid0(SALU_CYCLE_1)
	s_swappc_b64 s[30:31], s[0:1]
	s_mov_b32 s0, 0
.LBB2_141:                              ;   in Loop: Header=BB2_92 Depth=1
	s_delay_alu instid0(SALU_CYCLE_1)
	s_and_not1_b32 vcc_lo, exec_lo, s0
	s_cbranch_vccnz .LBB2_143
; %bb.142:                              ;   in Loop: Header=BB2_92 Depth=1
	v_mov_b32_e32 v31, v40
	s_add_u32 s8, s36, 0x1000
	s_addc_u32 s9, s37, 0
	s_mov_b64 s[4:5], s[38:39]
	s_mov_b64 s[10:11], s[34:35]
	s_mov_b32 s12, s41
	s_mov_b32 s13, s40
	;; [unrolled: 1-line block ×3, first 2 shown]
	s_getpc_b64 s[0:1]
	s_add_u32 s0, s0, _Z53ncclDevFunc_AllReduce_RING_SIMPLE_PreMulSum_f16_0_0_4v@rel32@lo+4
	s_addc_u32 s1, s1, _Z53ncclDevFunc_AllReduce_RING_SIMPLE_PreMulSum_f16_0_0_4v@rel32@hi+12
	s_delay_alu instid0(SALU_CYCLE_1)
	s_swappc_b64 s[30:31], s[0:1]
.LBB2_143:                              ;   in Loop: Header=BB2_92 Depth=1
	s_mov_b32 s0, 0
.LBB2_144:                              ;   in Loop: Header=BB2_92 Depth=1
	s_delay_alu instid0(SALU_CYCLE_1)
	s_and_not1_b32 vcc_lo, exec_lo, s0
	s_cbranch_vccnz .LBB2_181
; %bb.145:                              ;   in Loop: Header=BB2_92 Depth=1
	s_cmpk_gt_u32 s48, 0x90
	s_mov_b32 s0, -1
	s_cbranch_scc0 .LBB2_162
; %bb.146:                              ;   in Loop: Header=BB2_92 Depth=1
	s_cmpk_gt_u32 s48, 0x95
	s_cbranch_scc0 .LBB2_156
; %bb.147:                              ;   in Loop: Header=BB2_92 Depth=1
	s_cmpk_gt_u32 s48, 0x98
	s_cbranch_scc0 .LBB2_153
; %bb.148:                              ;   in Loop: Header=BB2_92 Depth=1
	s_cmpk_lg_i32 s48, 0x99
	s_cbranch_scc0 .LBB2_150
; %bb.149:                              ;   in Loop: Header=BB2_92 Depth=1
	v_mov_b32_e32 v31, v40
	s_add_u32 s8, s36, 0x1000
	s_addc_u32 s9, s37, 0
	s_mov_b64 s[4:5], s[38:39]
	s_mov_b64 s[10:11], s[34:35]
	s_mov_b32 s12, s41
	s_mov_b32 s13, s40
	;; [unrolled: 1-line block ×3, first 2 shown]
	s_getpc_b64 s[0:1]
	s_add_u32 s0, s0, _Z53ncclDevFunc_AllReduce_RING_SIMPLE_PreMulSum_u64_0_0_4v@rel32@lo+4
	s_addc_u32 s1, s1, _Z53ncclDevFunc_AllReduce_RING_SIMPLE_PreMulSum_u64_0_0_4v@rel32@hi+12
	s_delay_alu instid0(SALU_CYCLE_1)
	s_swappc_b64 s[30:31], s[0:1]
	s_mov_b32 s0, 0
.LBB2_150:                              ;   in Loop: Header=BB2_92 Depth=1
	s_delay_alu instid0(SALU_CYCLE_1)
	s_and_not1_b32 vcc_lo, exec_lo, s0
	s_cbranch_vccnz .LBB2_152
; %bb.151:                              ;   in Loop: Header=BB2_92 Depth=1
	v_mov_b32_e32 v31, v40
	s_add_u32 s8, s36, 0x1000
	s_addc_u32 s9, s37, 0
	s_mov_b64 s[4:5], s[38:39]
	s_mov_b64 s[10:11], s[34:35]
	s_mov_b32 s12, s41
	s_mov_b32 s13, s40
	;; [unrolled: 1-line block ×3, first 2 shown]
	s_getpc_b64 s[0:1]
	s_add_u32 s0, s0, _Z53ncclDevFunc_AllReduce_RING_SIMPLE_PreMulSum_u32_0_0_4v@rel32@lo+4
	s_addc_u32 s1, s1, _Z53ncclDevFunc_AllReduce_RING_SIMPLE_PreMulSum_u32_0_0_4v@rel32@hi+12
	s_delay_alu instid0(SALU_CYCLE_1)
	s_swappc_b64 s[30:31], s[0:1]
.LBB2_152:                              ;   in Loop: Header=BB2_92 Depth=1
	s_mov_b32 s0, 0
.LBB2_153:                              ;   in Loop: Header=BB2_92 Depth=1
	s_delay_alu instid0(SALU_CYCLE_1)
	s_and_not1_b32 vcc_lo, exec_lo, s0
	s_cbranch_vccnz .LBB2_155
; %bb.154:                              ;   in Loop: Header=BB2_92 Depth=1
	v_mov_b32_e32 v31, v40
	s_add_u32 s8, s36, 0x1000
	s_addc_u32 s9, s37, 0
	s_mov_b64 s[4:5], s[38:39]
	s_mov_b64 s[10:11], s[34:35]
	s_mov_b32 s12, s41
	s_mov_b32 s13, s40
	;; [unrolled: 1-line block ×3, first 2 shown]
	s_getpc_b64 s[0:1]
	s_add_u32 s0, s0, _Z52ncclDevFunc_AllReduce_RING_SIMPLE_PreMulSum_u8_0_0_4v@rel32@lo+4
	s_addc_u32 s1, s1, _Z52ncclDevFunc_AllReduce_RING_SIMPLE_PreMulSum_u8_0_0_4v@rel32@hi+12
	s_delay_alu instid0(SALU_CYCLE_1)
	s_swappc_b64 s[30:31], s[0:1]
.LBB2_155:                              ;   in Loop: Header=BB2_92 Depth=1
	s_mov_b32 s0, 0
.LBB2_156:                              ;   in Loop: Header=BB2_92 Depth=1
	s_delay_alu instid0(SALU_CYCLE_1)
	s_and_not1_b32 vcc_lo, exec_lo, s0
	s_cbranch_vccnz .LBB2_161
; %bb.157:                              ;   in Loop: Header=BB2_92 Depth=1
	s_cmpk_gt_u32 s48, 0x93
	s_mov_b32 s0, -1
	s_cbranch_scc0 .LBB2_159
; %bb.158:                              ;   in Loop: Header=BB2_92 Depth=1
	v_mov_b32_e32 v31, v40
	s_add_u32 s8, s36, 0x1000
	s_addc_u32 s9, s37, 0
	s_mov_b64 s[4:5], s[38:39]
	s_mov_b64 s[10:11], s[34:35]
	s_mov_b32 s12, s41
	s_mov_b32 s13, s40
	;; [unrolled: 1-line block ×3, first 2 shown]
	s_getpc_b64 s[0:1]
	s_add_u32 s0, s0, _Z53ncclDevFunc_AllReduce_RING_SIMPLE_MinMax_f8e5m2_0_0_4v@rel32@lo+4
	s_addc_u32 s1, s1, _Z53ncclDevFunc_AllReduce_RING_SIMPLE_MinMax_f8e5m2_0_0_4v@rel32@hi+12
	s_delay_alu instid0(SALU_CYCLE_1)
	s_swappc_b64 s[30:31], s[0:1]
	s_mov_b32 s0, 0
.LBB2_159:                              ;   in Loop: Header=BB2_92 Depth=1
	s_delay_alu instid0(SALU_CYCLE_1)
	s_and_not1_b32 vcc_lo, exec_lo, s0
	s_cbranch_vccnz .LBB2_161
; %bb.160:                              ;   in Loop: Header=BB2_92 Depth=1
	v_mov_b32_e32 v31, v40
	s_add_u32 s8, s36, 0x1000
	s_addc_u32 s9, s37, 0
	s_mov_b64 s[4:5], s[38:39]
	s_mov_b64 s[10:11], s[34:35]
	s_mov_b32 s12, s41
	s_mov_b32 s13, s40
	;; [unrolled: 1-line block ×3, first 2 shown]
	s_getpc_b64 s[0:1]
	s_add_u32 s0, s0, _Z53ncclDevFunc_AllReduce_RING_SIMPLE_MinMax_f8e4m3_0_0_4v@rel32@lo+4
	s_addc_u32 s1, s1, _Z53ncclDevFunc_AllReduce_RING_SIMPLE_MinMax_f8e4m3_0_0_4v@rel32@hi+12
	s_delay_alu instid0(SALU_CYCLE_1)
	s_swappc_b64 s[30:31], s[0:1]
.LBB2_161:                              ;   in Loop: Header=BB2_92 Depth=1
	s_mov_b32 s0, 0
.LBB2_162:                              ;   in Loop: Header=BB2_92 Depth=1
	s_delay_alu instid0(SALU_CYCLE_1)
	s_and_not1_b32 vcc_lo, exec_lo, s0
	s_cbranch_vccnz .LBB2_181
; %bb.163:                              ;   in Loop: Header=BB2_92 Depth=1
	s_cmpk_gt_u32 s48, 0x8a
	s_mov_b32 s0, -1
	s_cbranch_scc0 .LBB2_176
; %bb.164:                              ;   in Loop: Header=BB2_92 Depth=1
	s_cmpk_gt_u32 s48, 0x8d
	s_cbranch_scc0 .LBB2_170
; %bb.165:                              ;   in Loop: Header=BB2_92 Depth=1
	s_cmpk_eq_i32 s48, 0x90
	s_cbranch_scc1 .LBB2_167
; %bb.166:                              ;   in Loop: Header=BB2_92 Depth=1
	v_mov_b32_e32 v31, v40
	s_add_u32 s8, s36, 0x1000
	s_addc_u32 s9, s37, 0
	s_mov_b64 s[4:5], s[38:39]
	s_mov_b64 s[10:11], s[34:35]
	s_mov_b32 s12, s41
	s_mov_b32 s13, s40
	;; [unrolled: 1-line block ×3, first 2 shown]
	s_getpc_b64 s[0:1]
	s_add_u32 s0, s0, _Z51ncclDevFunc_AllReduce_RING_SIMPLE_MinMax_bf16_0_0_4v@rel32@lo+4
	s_addc_u32 s1, s1, _Z51ncclDevFunc_AllReduce_RING_SIMPLE_MinMax_bf16_0_0_4v@rel32@hi+12
	s_delay_alu instid0(SALU_CYCLE_1)
	s_swappc_b64 s[30:31], s[0:1]
	s_mov_b32 s0, 0
.LBB2_167:                              ;   in Loop: Header=BB2_92 Depth=1
	s_delay_alu instid0(SALU_CYCLE_1)
	s_and_not1_b32 vcc_lo, exec_lo, s0
	s_cbranch_vccnz .LBB2_169
; %bb.168:                              ;   in Loop: Header=BB2_92 Depth=1
	v_mov_b32_e32 v31, v40
	s_add_u32 s8, s36, 0x1000
	s_addc_u32 s9, s37, 0
	s_mov_b64 s[4:5], s[38:39]
	s_mov_b64 s[10:11], s[34:35]
	s_mov_b32 s12, s41
	s_mov_b32 s13, s40
	;; [unrolled: 1-line block ×3, first 2 shown]
	s_getpc_b64 s[0:1]
	s_add_u32 s0, s0, _Z51ncclDevFunc_AllReduce_RING_SIMPLE_MinMax_bf16_0_1_4v@rel32@lo+4
	s_addc_u32 s1, s1, _Z51ncclDevFunc_AllReduce_RING_SIMPLE_MinMax_bf16_0_1_4v@rel32@hi+12
	s_delay_alu instid0(SALU_CYCLE_1)
	s_swappc_b64 s[30:31], s[0:1]
.LBB2_169:                              ;   in Loop: Header=BB2_92 Depth=1
	s_mov_b32 s0, 0
.LBB2_170:                              ;   in Loop: Header=BB2_92 Depth=1
	s_delay_alu instid0(SALU_CYCLE_1)
	s_and_not1_b32 vcc_lo, exec_lo, s0
	s_cbranch_vccnz .LBB2_175
; %bb.171:                              ;   in Loop: Header=BB2_92 Depth=1
	s_cmpk_lg_i32 s48, 0x8b
	s_mov_b32 s0, -1
	s_cbranch_scc0 .LBB2_173
; %bb.172:                              ;   in Loop: Header=BB2_92 Depth=1
	v_mov_b32_e32 v31, v40
	s_add_u32 s8, s36, 0x1000
	s_addc_u32 s9, s37, 0
	s_mov_b64 s[4:5], s[38:39]
	s_mov_b64 s[10:11], s[34:35]
	s_mov_b32 s12, s41
	s_mov_b32 s13, s40
	;; [unrolled: 1-line block ×3, first 2 shown]
	s_getpc_b64 s[0:1]
	s_add_u32 s0, s0, _Z50ncclDevFunc_AllReduce_RING_SIMPLE_MinMax_f64_0_0_4v@rel32@lo+4
	s_addc_u32 s1, s1, _Z50ncclDevFunc_AllReduce_RING_SIMPLE_MinMax_f64_0_0_4v@rel32@hi+12
	s_delay_alu instid0(SALU_CYCLE_1)
	s_swappc_b64 s[30:31], s[0:1]
	s_mov_b32 s0, 0
.LBB2_173:                              ;   in Loop: Header=BB2_92 Depth=1
	s_delay_alu instid0(SALU_CYCLE_1)
	s_and_not1_b32 vcc_lo, exec_lo, s0
	s_cbranch_vccnz .LBB2_175
; %bb.174:                              ;   in Loop: Header=BB2_92 Depth=1
	v_mov_b32_e32 v31, v40
	s_add_u32 s8, s36, 0x1000
	s_addc_u32 s9, s37, 0
	s_mov_b64 s[4:5], s[38:39]
	s_mov_b64 s[10:11], s[34:35]
	s_mov_b32 s12, s41
	s_mov_b32 s13, s40
	;; [unrolled: 1-line block ×3, first 2 shown]
	s_getpc_b64 s[0:1]
	s_add_u32 s0, s0, _Z50ncclDevFunc_AllReduce_RING_SIMPLE_MinMax_f32_0_0_4v@rel32@lo+4
	s_addc_u32 s1, s1, _Z50ncclDevFunc_AllReduce_RING_SIMPLE_MinMax_f32_0_0_4v@rel32@hi+12
	s_delay_alu instid0(SALU_CYCLE_1)
	s_swappc_b64 s[30:31], s[0:1]
.LBB2_175:                              ;   in Loop: Header=BB2_92 Depth=1
	s_mov_b32 s0, 0
.LBB2_176:                              ;   in Loop: Header=BB2_92 Depth=1
	s_delay_alu instid0(SALU_CYCLE_1)
	s_and_not1_b32 vcc_lo, exec_lo, s0
	s_cbranch_vccnz .LBB2_181
; %bb.177:                              ;   in Loop: Header=BB2_92 Depth=1
	s_cmpk_gt_u32 s48, 0x87
	s_mov_b32 s0, -1
	s_cbranch_scc0 .LBB2_179
; %bb.178:                              ;   in Loop: Header=BB2_92 Depth=1
	v_mov_b32_e32 v31, v40
	s_add_u32 s8, s36, 0x1000
	s_addc_u32 s9, s37, 0
	s_mov_b64 s[4:5], s[38:39]
	s_mov_b64 s[10:11], s[34:35]
	s_mov_b32 s12, s41
	s_mov_b32 s13, s40
	;; [unrolled: 1-line block ×3, first 2 shown]
	s_getpc_b64 s[0:1]
	s_add_u32 s0, s0, _Z50ncclDevFunc_AllReduce_RING_SIMPLE_MinMax_f16_0_0_4v@rel32@lo+4
	s_addc_u32 s1, s1, _Z50ncclDevFunc_AllReduce_RING_SIMPLE_MinMax_f16_0_0_4v@rel32@hi+12
	s_delay_alu instid0(SALU_CYCLE_1)
	s_swappc_b64 s[30:31], s[0:1]
	s_mov_b32 s0, 0
.LBB2_179:                              ;   in Loop: Header=BB2_92 Depth=1
	s_delay_alu instid0(SALU_CYCLE_1)
	s_and_not1_b32 vcc_lo, exec_lo, s0
	s_cbranch_vccnz .LBB2_181
; %bb.180:                              ;   in Loop: Header=BB2_92 Depth=1
	v_mov_b32_e32 v31, v40
	s_add_u32 s8, s36, 0x1000
	s_addc_u32 s9, s37, 0
	s_mov_b64 s[4:5], s[38:39]
	s_mov_b64 s[10:11], s[34:35]
	s_mov_b32 s12, s41
	s_mov_b32 s13, s40
	;; [unrolled: 1-line block ×3, first 2 shown]
	s_getpc_b64 s[0:1]
	s_add_u32 s0, s0, _Z50ncclDevFunc_AllReduce_RING_SIMPLE_MinMax_u64_0_0_4v@rel32@lo+4
	s_addc_u32 s1, s1, _Z50ncclDevFunc_AllReduce_RING_SIMPLE_MinMax_u64_0_0_4v@rel32@hi+12
	s_delay_alu instid0(SALU_CYCLE_1)
	s_swappc_b64 s[30:31], s[0:1]
.LBB2_181:                              ;   in Loop: Header=BB2_92 Depth=1
	s_mov_b32 s0, 0
.LBB2_182:                              ;   in Loop: Header=BB2_92 Depth=1
	s_delay_alu instid0(SALU_CYCLE_1)
	s_and_not1_b32 vcc_lo, exec_lo, s0
	s_cbranch_vccnz .LBB2_266
; %bb.183:                              ;   in Loop: Header=BB2_92 Depth=1
	s_cmpk_gt_u32 s48, 0x6e
	s_mov_b32 s0, -1
	s_cbranch_scc0 .LBB2_225
; %bb.184:                              ;   in Loop: Header=BB2_92 Depth=1
	s_cmpk_gt_u32 s48, 0x79
	s_cbranch_scc0 .LBB2_204
; %bb.185:                              ;   in Loop: Header=BB2_92 Depth=1
	s_cmpk_gt_u32 s48, 0x7f
	;; [unrolled: 3-line block ×3, first 2 shown]
	s_cbranch_scc0 .LBB2_192
; %bb.187:                              ;   in Loop: Header=BB2_92 Depth=1
	s_cmpk_lg_i32 s48, 0x83
	s_cbranch_scc0 .LBB2_189
; %bb.188:                              ;   in Loop: Header=BB2_92 Depth=1
	v_mov_b32_e32 v31, v40
	s_add_u32 s8, s36, 0x1000
	s_addc_u32 s9, s37, 0
	s_mov_b64 s[4:5], s[38:39]
	s_mov_b64 s[10:11], s[34:35]
	s_mov_b32 s12, s41
	s_mov_b32 s13, s40
	;; [unrolled: 1-line block ×3, first 2 shown]
	s_getpc_b64 s[0:1]
	s_add_u32 s0, s0, _Z50ncclDevFunc_AllReduce_RING_SIMPLE_MinMax_u32_0_0_4v@rel32@lo+4
	s_addc_u32 s1, s1, _Z50ncclDevFunc_AllReduce_RING_SIMPLE_MinMax_u32_0_0_4v@rel32@hi+12
	s_delay_alu instid0(SALU_CYCLE_1)
	s_swappc_b64 s[30:31], s[0:1]
	s_mov_b32 s0, 0
.LBB2_189:                              ;   in Loop: Header=BB2_92 Depth=1
	s_delay_alu instid0(SALU_CYCLE_1)
	s_and_not1_b32 vcc_lo, exec_lo, s0
	s_cbranch_vccnz .LBB2_191
; %bb.190:                              ;   in Loop: Header=BB2_92 Depth=1
	v_mov_b32_e32 v31, v40
	s_add_u32 s8, s36, 0x1000
	s_addc_u32 s9, s37, 0
	s_mov_b64 s[4:5], s[38:39]
	s_mov_b64 s[10:11], s[34:35]
	s_mov_b32 s12, s41
	s_mov_b32 s13, s40
	;; [unrolled: 1-line block ×3, first 2 shown]
	s_getpc_b64 s[0:1]
	s_add_u32 s0, s0, _Z49ncclDevFunc_AllReduce_RING_SIMPLE_MinMax_u8_0_0_4v@rel32@lo+4
	s_addc_u32 s1, s1, _Z49ncclDevFunc_AllReduce_RING_SIMPLE_MinMax_u8_0_0_4v@rel32@hi+12
	s_delay_alu instid0(SALU_CYCLE_1)
	s_swappc_b64 s[30:31], s[0:1]
.LBB2_191:                              ;   in Loop: Header=BB2_92 Depth=1
	s_mov_b32 s0, 0
.LBB2_192:                              ;   in Loop: Header=BB2_92 Depth=1
	s_delay_alu instid0(SALU_CYCLE_1)
	s_and_not1_b32 vcc_lo, exec_lo, s0
	s_cbranch_vccnz .LBB2_194
; %bb.193:                              ;   in Loop: Header=BB2_92 Depth=1
	v_mov_b32_e32 v31, v40
	s_add_u32 s8, s36, 0x1000
	s_addc_u32 s9, s37, 0
	s_mov_b64 s[4:5], s[38:39]
	s_mov_b64 s[10:11], s[34:35]
	s_mov_b32 s12, s41
	s_mov_b32 s13, s40
	;; [unrolled: 1-line block ×3, first 2 shown]
	s_getpc_b64 s[0:1]
	s_add_u32 s0, s0, _Z51ncclDevFunc_AllReduce_RING_SIMPLE_Prod_f8e5m2_0_0_4v@rel32@lo+4
	s_addc_u32 s1, s1, _Z51ncclDevFunc_AllReduce_RING_SIMPLE_Prod_f8e5m2_0_0_4v@rel32@hi+12
	s_delay_alu instid0(SALU_CYCLE_1)
	s_swappc_b64 s[30:31], s[0:1]
.LBB2_194:                              ;   in Loop: Header=BB2_92 Depth=1
	s_mov_b32 s0, 0
.LBB2_195:                              ;   in Loop: Header=BB2_92 Depth=1
	s_delay_alu instid0(SALU_CYCLE_1)
	s_and_not1_b32 vcc_lo, exec_lo, s0
	s_cbranch_vccnz .LBB2_203
; %bb.196:                              ;   in Loop: Header=BB2_92 Depth=1
	s_cmpk_gt_u32 s48, 0x7c
	s_mov_b32 s0, -1
	s_cbranch_scc0 .LBB2_198
; %bb.197:                              ;   in Loop: Header=BB2_92 Depth=1
	v_mov_b32_e32 v31, v40
	s_add_u32 s8, s36, 0x1000
	s_addc_u32 s9, s37, 0
	s_mov_b64 s[4:5], s[38:39]
	s_mov_b64 s[10:11], s[34:35]
	s_mov_b32 s12, s41
	s_mov_b32 s13, s40
	;; [unrolled: 1-line block ×3, first 2 shown]
	s_getpc_b64 s[0:1]
	s_add_u32 s0, s0, _Z51ncclDevFunc_AllReduce_RING_SIMPLE_Prod_f8e4m3_0_0_4v@rel32@lo+4
	s_addc_u32 s1, s1, _Z51ncclDevFunc_AllReduce_RING_SIMPLE_Prod_f8e4m3_0_0_4v@rel32@hi+12
	s_delay_alu instid0(SALU_CYCLE_1)
	s_swappc_b64 s[30:31], s[0:1]
	s_mov_b32 s0, 0
.LBB2_198:                              ;   in Loop: Header=BB2_92 Depth=1
	s_delay_alu instid0(SALU_CYCLE_1)
	s_and_not1_b32 vcc_lo, exec_lo, s0
	s_cbranch_vccnz .LBB2_203
; %bb.199:                              ;   in Loop: Header=BB2_92 Depth=1
	s_cmpk_eq_i32 s48, 0x7c
	s_mov_b32 s0, -1
	s_cbranch_scc1 .LBB2_201
; %bb.200:                              ;   in Loop: Header=BB2_92 Depth=1
	v_mov_b32_e32 v31, v40
	s_add_u32 s8, s36, 0x1000
	s_addc_u32 s9, s37, 0
	s_mov_b64 s[4:5], s[38:39]
	s_mov_b64 s[10:11], s[34:35]
	s_mov_b32 s12, s41
	s_mov_b32 s13, s40
	;; [unrolled: 1-line block ×3, first 2 shown]
	s_getpc_b64 s[0:1]
	s_add_u32 s0, s0, _Z49ncclDevFunc_AllReduce_RING_SIMPLE_Prod_bf16_0_0_4v@rel32@lo+4
	s_addc_u32 s1, s1, _Z49ncclDevFunc_AllReduce_RING_SIMPLE_Prod_bf16_0_0_4v@rel32@hi+12
	s_delay_alu instid0(SALU_CYCLE_1)
	s_swappc_b64 s[30:31], s[0:1]
	s_mov_b32 s0, 0
.LBB2_201:                              ;   in Loop: Header=BB2_92 Depth=1
	s_delay_alu instid0(SALU_CYCLE_1)
	s_and_not1_b32 vcc_lo, exec_lo, s0
	s_cbranch_vccnz .LBB2_203
; %bb.202:                              ;   in Loop: Header=BB2_92 Depth=1
	v_mov_b32_e32 v31, v40
	s_add_u32 s8, s36, 0x1000
	s_addc_u32 s9, s37, 0
	s_mov_b64 s[4:5], s[38:39]
	s_mov_b64 s[10:11], s[34:35]
	s_mov_b32 s12, s41
	s_mov_b32 s13, s40
	;; [unrolled: 1-line block ×3, first 2 shown]
	s_getpc_b64 s[0:1]
	s_add_u32 s0, s0, _Z49ncclDevFunc_AllReduce_RING_SIMPLE_Prod_bf16_0_1_4v@rel32@lo+4
	s_addc_u32 s1, s1, _Z49ncclDevFunc_AllReduce_RING_SIMPLE_Prod_bf16_0_1_4v@rel32@hi+12
	s_delay_alu instid0(SALU_CYCLE_1)
	s_swappc_b64 s[30:31], s[0:1]
.LBB2_203:                              ;   in Loop: Header=BB2_92 Depth=1
	s_mov_b32 s0, 0
.LBB2_204:                              ;   in Loop: Header=BB2_92 Depth=1
	s_delay_alu instid0(SALU_CYCLE_1)
	s_and_not1_b32 vcc_lo, exec_lo, s0
	s_cbranch_vccnz .LBB2_224
; %bb.205:                              ;   in Loop: Header=BB2_92 Depth=1
	s_cmpk_gt_u32 s48, 0x73
	s_mov_b32 s0, -1
	s_cbranch_scc0 .LBB2_215
; %bb.206:                              ;   in Loop: Header=BB2_92 Depth=1
	s_cmpk_gt_u32 s48, 0x76
	s_cbranch_scc0 .LBB2_212
; %bb.207:                              ;   in Loop: Header=BB2_92 Depth=1
	s_cmpk_lg_i32 s48, 0x77
	s_cbranch_scc0 .LBB2_209
; %bb.208:                              ;   in Loop: Header=BB2_92 Depth=1
	v_mov_b32_e32 v31, v40
	s_add_u32 s8, s36, 0x1000
	s_addc_u32 s9, s37, 0
	s_mov_b64 s[4:5], s[38:39]
	s_mov_b64 s[10:11], s[34:35]
	s_mov_b32 s12, s41
	s_mov_b32 s13, s40
	;; [unrolled: 1-line block ×3, first 2 shown]
	s_getpc_b64 s[0:1]
	s_add_u32 s0, s0, _Z48ncclDevFunc_AllReduce_RING_SIMPLE_Prod_f64_0_0_4v@rel32@lo+4
	s_addc_u32 s1, s1, _Z48ncclDevFunc_AllReduce_RING_SIMPLE_Prod_f64_0_0_4v@rel32@hi+12
	s_delay_alu instid0(SALU_CYCLE_1)
	s_swappc_b64 s[30:31], s[0:1]
	s_mov_b32 s0, 0
.LBB2_209:                              ;   in Loop: Header=BB2_92 Depth=1
	s_delay_alu instid0(SALU_CYCLE_1)
	s_and_not1_b32 vcc_lo, exec_lo, s0
	s_cbranch_vccnz .LBB2_211
; %bb.210:                              ;   in Loop: Header=BB2_92 Depth=1
	v_mov_b32_e32 v31, v40
	s_add_u32 s8, s36, 0x1000
	s_addc_u32 s9, s37, 0
	s_mov_b64 s[4:5], s[38:39]
	s_mov_b64 s[10:11], s[34:35]
	s_mov_b32 s12, s41
	s_mov_b32 s13, s40
	;; [unrolled: 1-line block ×3, first 2 shown]
	s_getpc_b64 s[0:1]
	s_add_u32 s0, s0, _Z48ncclDevFunc_AllReduce_RING_SIMPLE_Prod_f32_0_0_4v@rel32@lo+4
	s_addc_u32 s1, s1, _Z48ncclDevFunc_AllReduce_RING_SIMPLE_Prod_f32_0_0_4v@rel32@hi+12
	s_delay_alu instid0(SALU_CYCLE_1)
	s_swappc_b64 s[30:31], s[0:1]
.LBB2_211:                              ;   in Loop: Header=BB2_92 Depth=1
	s_mov_b32 s0, 0
.LBB2_212:                              ;   in Loop: Header=BB2_92 Depth=1
	s_delay_alu instid0(SALU_CYCLE_1)
	s_and_not1_b32 vcc_lo, exec_lo, s0
	s_cbranch_vccnz .LBB2_214
; %bb.213:                              ;   in Loop: Header=BB2_92 Depth=1
	v_mov_b32_e32 v31, v40
	s_add_u32 s8, s36, 0x1000
	s_addc_u32 s9, s37, 0
	s_mov_b64 s[4:5], s[38:39]
	s_mov_b64 s[10:11], s[34:35]
	s_mov_b32 s12, s41
	s_mov_b32 s13, s40
	;; [unrolled: 1-line block ×3, first 2 shown]
	s_getpc_b64 s[0:1]
	s_add_u32 s0, s0, _Z48ncclDevFunc_AllReduce_RING_SIMPLE_Prod_f16_0_0_4v@rel32@lo+4
	s_addc_u32 s1, s1, _Z48ncclDevFunc_AllReduce_RING_SIMPLE_Prod_f16_0_0_4v@rel32@hi+12
	s_delay_alu instid0(SALU_CYCLE_1)
	s_swappc_b64 s[30:31], s[0:1]
.LBB2_214:                              ;   in Loop: Header=BB2_92 Depth=1
	s_mov_b32 s0, 0
.LBB2_215:                              ;   in Loop: Header=BB2_92 Depth=1
	s_delay_alu instid0(SALU_CYCLE_1)
	s_and_not1_b32 vcc_lo, exec_lo, s0
	s_cbranch_vccnz .LBB2_224
; %bb.216:                              ;   in Loop: Header=BB2_92 Depth=1
	s_cmpk_gt_u32 s48, 0x70
	s_mov_b32 s0, -1
	s_cbranch_scc0 .LBB2_222
; %bb.217:                              ;   in Loop: Header=BB2_92 Depth=1
	s_cmpk_lg_i32 s48, 0x71
	s_cbranch_scc0 .LBB2_219
; %bb.218:                              ;   in Loop: Header=BB2_92 Depth=1
	v_mov_b32_e32 v31, v40
	s_add_u32 s8, s36, 0x1000
	s_addc_u32 s9, s37, 0
	s_mov_b64 s[4:5], s[38:39]
	s_mov_b64 s[10:11], s[34:35]
	s_mov_b32 s12, s41
	s_mov_b32 s13, s40
	;; [unrolled: 1-line block ×3, first 2 shown]
	s_getpc_b64 s[0:1]
	s_add_u32 s0, s0, _Z48ncclDevFunc_AllReduce_RING_SIMPLE_Prod_u64_0_0_4v@rel32@lo+4
	s_addc_u32 s1, s1, _Z48ncclDevFunc_AllReduce_RING_SIMPLE_Prod_u64_0_0_4v@rel32@hi+12
	s_delay_alu instid0(SALU_CYCLE_1)
	s_swappc_b64 s[30:31], s[0:1]
	s_mov_b32 s0, 0
.LBB2_219:                              ;   in Loop: Header=BB2_92 Depth=1
	s_delay_alu instid0(SALU_CYCLE_1)
	s_and_not1_b32 vcc_lo, exec_lo, s0
	s_cbranch_vccnz .LBB2_221
; %bb.220:                              ;   in Loop: Header=BB2_92 Depth=1
	v_mov_b32_e32 v31, v40
	s_add_u32 s8, s36, 0x1000
	s_addc_u32 s9, s37, 0
	s_mov_b64 s[4:5], s[38:39]
	s_mov_b64 s[10:11], s[34:35]
	s_mov_b32 s12, s41
	s_mov_b32 s13, s40
	s_mov_b32 s14, s33
	s_getpc_b64 s[0:1]
	s_add_u32 s0, s0, _Z48ncclDevFunc_AllReduce_RING_SIMPLE_Prod_u32_0_0_4v@rel32@lo+4
	s_addc_u32 s1, s1, _Z48ncclDevFunc_AllReduce_RING_SIMPLE_Prod_u32_0_0_4v@rel32@hi+12
	s_delay_alu instid0(SALU_CYCLE_1)
	s_swappc_b64 s[30:31], s[0:1]
.LBB2_221:                              ;   in Loop: Header=BB2_92 Depth=1
	s_mov_b32 s0, 0
.LBB2_222:                              ;   in Loop: Header=BB2_92 Depth=1
	s_delay_alu instid0(SALU_CYCLE_1)
	s_and_not1_b32 vcc_lo, exec_lo, s0
	s_cbranch_vccnz .LBB2_224
; %bb.223:                              ;   in Loop: Header=BB2_92 Depth=1
	v_mov_b32_e32 v31, v40
	s_add_u32 s8, s36, 0x1000
	s_addc_u32 s9, s37, 0
	s_mov_b64 s[4:5], s[38:39]
	s_mov_b64 s[10:11], s[34:35]
	s_mov_b32 s12, s41
	s_mov_b32 s13, s40
	;; [unrolled: 1-line block ×3, first 2 shown]
	s_getpc_b64 s[0:1]
	s_add_u32 s0, s0, _Z47ncclDevFunc_AllReduce_RING_SIMPLE_Prod_u8_0_0_4v@rel32@lo+4
	s_addc_u32 s1, s1, _Z47ncclDevFunc_AllReduce_RING_SIMPLE_Prod_u8_0_0_4v@rel32@hi+12
	s_delay_alu instid0(SALU_CYCLE_1)
	s_swappc_b64 s[30:31], s[0:1]
.LBB2_224:                              ;   in Loop: Header=BB2_92 Depth=1
	s_mov_b32 s0, 0
.LBB2_225:                              ;   in Loop: Header=BB2_92 Depth=1
	s_delay_alu instid0(SALU_CYCLE_1)
	s_and_not1_b32 vcc_lo, exec_lo, s0
	s_cbranch_vccnz .LBB2_266
; %bb.226:                              ;   in Loop: Header=BB2_92 Depth=1
	s_cmpk_gt_u32 s48, 0x63
	s_mov_b32 s0, -1
	s_cbranch_scc0 .LBB2_243
; %bb.227:                              ;   in Loop: Header=BB2_92 Depth=1
	s_cmpk_gt_u32 s48, 0x68
	s_cbranch_scc0 .LBB2_233
; %bb.228:                              ;   in Loop: Header=BB2_92 Depth=1
	s_cmpk_gt_u32 s48, 0x6b
	s_cbranch_scc0 .LBB2_230
; %bb.229:                              ;   in Loop: Header=BB2_92 Depth=1
	v_mov_b32_e32 v31, v40
	s_add_u32 s8, s36, 0x1000
	s_addc_u32 s9, s37, 0
	s_mov_b64 s[4:5], s[38:39]
	s_mov_b64 s[10:11], s[34:35]
	s_mov_b32 s12, s41
	s_mov_b32 s13, s40
	;; [unrolled: 1-line block ×3, first 2 shown]
	s_getpc_b64 s[0:1]
	s_add_u32 s0, s0, _Z50ncclDevFunc_AllReduce_RING_SIMPLE_Sum_f8e5m2_0_0_4v@rel32@lo+4
	s_addc_u32 s1, s1, _Z50ncclDevFunc_AllReduce_RING_SIMPLE_Sum_f8e5m2_0_0_4v@rel32@hi+12
	s_delay_alu instid0(SALU_CYCLE_1)
	s_swappc_b64 s[30:31], s[0:1]
	s_mov_b32 s0, 0
.LBB2_230:                              ;   in Loop: Header=BB2_92 Depth=1
	s_delay_alu instid0(SALU_CYCLE_1)
	s_and_not1_b32 vcc_lo, exec_lo, s0
	s_cbranch_vccnz .LBB2_232
; %bb.231:                              ;   in Loop: Header=BB2_92 Depth=1
	v_mov_b32_e32 v31, v40
	s_add_u32 s8, s36, 0x1000
	s_addc_u32 s9, s37, 0
	s_mov_b64 s[4:5], s[38:39]
	s_mov_b64 s[10:11], s[34:35]
	s_mov_b32 s12, s41
	s_mov_b32 s13, s40
	;; [unrolled: 1-line block ×3, first 2 shown]
	s_getpc_b64 s[0:1]
	s_add_u32 s0, s0, _Z50ncclDevFunc_AllReduce_RING_SIMPLE_Sum_f8e4m3_0_0_4v@rel32@lo+4
	s_addc_u32 s1, s1, _Z50ncclDevFunc_AllReduce_RING_SIMPLE_Sum_f8e4m3_0_0_4v@rel32@hi+12
	s_delay_alu instid0(SALU_CYCLE_1)
	s_swappc_b64 s[30:31], s[0:1]
.LBB2_232:                              ;   in Loop: Header=BB2_92 Depth=1
	s_mov_b32 s0, 0
.LBB2_233:                              ;   in Loop: Header=BB2_92 Depth=1
	s_delay_alu instid0(SALU_CYCLE_1)
	s_and_not1_b32 vcc_lo, exec_lo, s0
	s_cbranch_vccnz .LBB2_242
; %bb.234:                              ;   in Loop: Header=BB2_92 Depth=1
	s_cmpk_gt_u32 s48, 0x65
	s_mov_b32 s0, -1
	s_cbranch_scc0 .LBB2_240
; %bb.235:                              ;   in Loop: Header=BB2_92 Depth=1
	s_cmpk_eq_i32 s48, 0x68
	s_cbranch_scc1 .LBB2_237
; %bb.236:                              ;   in Loop: Header=BB2_92 Depth=1
	v_mov_b32_e32 v31, v40
	s_add_u32 s8, s36, 0x1000
	s_addc_u32 s9, s37, 0
	s_mov_b64 s[4:5], s[38:39]
	s_mov_b64 s[10:11], s[34:35]
	s_mov_b32 s12, s41
	s_mov_b32 s13, s40
	;; [unrolled: 1-line block ×3, first 2 shown]
	s_getpc_b64 s[0:1]
	s_add_u32 s0, s0, _Z48ncclDevFunc_AllReduce_RING_SIMPLE_Sum_bf16_0_0_4v@rel32@lo+4
	s_addc_u32 s1, s1, _Z48ncclDevFunc_AllReduce_RING_SIMPLE_Sum_bf16_0_0_4v@rel32@hi+12
	s_delay_alu instid0(SALU_CYCLE_1)
	s_swappc_b64 s[30:31], s[0:1]
	s_mov_b32 s0, 0
.LBB2_237:                              ;   in Loop: Header=BB2_92 Depth=1
	s_delay_alu instid0(SALU_CYCLE_1)
	s_and_not1_b32 vcc_lo, exec_lo, s0
	s_cbranch_vccnz .LBB2_239
; %bb.238:                              ;   in Loop: Header=BB2_92 Depth=1
	v_mov_b32_e32 v31, v40
	s_add_u32 s8, s36, 0x1000
	s_addc_u32 s9, s37, 0
	s_mov_b64 s[4:5], s[38:39]
	s_mov_b64 s[10:11], s[34:35]
	s_mov_b32 s12, s41
	s_mov_b32 s13, s40
	;; [unrolled: 1-line block ×3, first 2 shown]
	s_getpc_b64 s[0:1]
	s_add_u32 s0, s0, _Z48ncclDevFunc_AllReduce_RING_SIMPLE_Sum_bf16_0_1_4v@rel32@lo+4
	s_addc_u32 s1, s1, _Z48ncclDevFunc_AllReduce_RING_SIMPLE_Sum_bf16_0_1_4v@rel32@hi+12
	s_delay_alu instid0(SALU_CYCLE_1)
	s_swappc_b64 s[30:31], s[0:1]
.LBB2_239:                              ;   in Loop: Header=BB2_92 Depth=1
	s_mov_b32 s0, 0
.LBB2_240:                              ;   in Loop: Header=BB2_92 Depth=1
	s_delay_alu instid0(SALU_CYCLE_1)
	s_and_not1_b32 vcc_lo, exec_lo, s0
	s_cbranch_vccnz .LBB2_242
; %bb.241:                              ;   in Loop: Header=BB2_92 Depth=1
	v_mov_b32_e32 v31, v40
	s_add_u32 s8, s36, 0x1000
	s_addc_u32 s9, s37, 0
	s_mov_b64 s[4:5], s[38:39]
	s_mov_b64 s[10:11], s[34:35]
	s_mov_b32 s12, s41
	s_mov_b32 s13, s40
	;; [unrolled: 1-line block ×3, first 2 shown]
	s_getpc_b64 s[0:1]
	s_add_u32 s0, s0, _Z47ncclDevFunc_AllReduce_RING_SIMPLE_Sum_f64_0_0_4v@rel32@lo+4
	s_addc_u32 s1, s1, _Z47ncclDevFunc_AllReduce_RING_SIMPLE_Sum_f64_0_0_4v@rel32@hi+12
	s_delay_alu instid0(SALU_CYCLE_1)
	s_swappc_b64 s[30:31], s[0:1]
.LBB2_242:                              ;   in Loop: Header=BB2_92 Depth=1
	s_mov_b32 s0, 0
.LBB2_243:                              ;   in Loop: Header=BB2_92 Depth=1
	s_delay_alu instid0(SALU_CYCLE_1)
	s_and_not1_b32 vcc_lo, exec_lo, s0
	s_cbranch_vccnz .LBB2_266
; %bb.244:                              ;   in Loop: Header=BB2_92 Depth=1
	s_cmpk_gt_u32 s48, 0x5d
	s_mov_b32 s0, -1
	s_cbranch_scc0 .LBB2_254
; %bb.245:                              ;   in Loop: Header=BB2_92 Depth=1
	s_cmpk_gt_u32 s48, 0x60
	s_cbranch_scc0 .LBB2_251
; %bb.246:                              ;   in Loop: Header=BB2_92 Depth=1
	s_cmpk_lg_i32 s48, 0x61
	s_cbranch_scc0 .LBB2_248
; %bb.247:                              ;   in Loop: Header=BB2_92 Depth=1
	v_mov_b32_e32 v31, v40
	s_add_u32 s8, s36, 0x1000
	s_addc_u32 s9, s37, 0
	s_mov_b64 s[4:5], s[38:39]
	s_mov_b64 s[10:11], s[34:35]
	s_mov_b32 s12, s41
	s_mov_b32 s13, s40
	;; [unrolled: 1-line block ×3, first 2 shown]
	s_getpc_b64 s[0:1]
	s_add_u32 s0, s0, _Z47ncclDevFunc_AllReduce_RING_SIMPLE_Sum_f32_0_0_4v@rel32@lo+4
	s_addc_u32 s1, s1, _Z47ncclDevFunc_AllReduce_RING_SIMPLE_Sum_f32_0_0_4v@rel32@hi+12
	s_delay_alu instid0(SALU_CYCLE_1)
	s_swappc_b64 s[30:31], s[0:1]
	s_mov_b32 s0, 0
.LBB2_248:                              ;   in Loop: Header=BB2_92 Depth=1
	s_delay_alu instid0(SALU_CYCLE_1)
	s_and_not1_b32 vcc_lo, exec_lo, s0
	s_cbranch_vccnz .LBB2_250
; %bb.249:                              ;   in Loop: Header=BB2_92 Depth=1
	v_mov_b32_e32 v31, v40
	s_add_u32 s8, s36, 0x1000
	s_addc_u32 s9, s37, 0
	s_mov_b64 s[4:5], s[38:39]
	s_mov_b64 s[10:11], s[34:35]
	s_mov_b32 s12, s41
	s_mov_b32 s13, s40
	;; [unrolled: 1-line block ×3, first 2 shown]
	s_getpc_b64 s[0:1]
	s_add_u32 s0, s0, _Z47ncclDevFunc_AllReduce_RING_SIMPLE_Sum_f16_0_0_4v@rel32@lo+4
	s_addc_u32 s1, s1, _Z47ncclDevFunc_AllReduce_RING_SIMPLE_Sum_f16_0_0_4v@rel32@hi+12
	s_delay_alu instid0(SALU_CYCLE_1)
	s_swappc_b64 s[30:31], s[0:1]
.LBB2_250:                              ;   in Loop: Header=BB2_92 Depth=1
	s_mov_b32 s0, 0
.LBB2_251:                              ;   in Loop: Header=BB2_92 Depth=1
	s_delay_alu instid0(SALU_CYCLE_1)
	s_and_not1_b32 vcc_lo, exec_lo, s0
	s_cbranch_vccnz .LBB2_253
; %bb.252:                              ;   in Loop: Header=BB2_92 Depth=1
	v_mov_b32_e32 v31, v40
	s_add_u32 s8, s36, 0x1000
	s_addc_u32 s9, s37, 0
	s_mov_b64 s[4:5], s[38:39]
	s_mov_b64 s[10:11], s[34:35]
	s_mov_b32 s12, s41
	s_mov_b32 s13, s40
	;; [unrolled: 1-line block ×3, first 2 shown]
	s_getpc_b64 s[0:1]
	s_add_u32 s0, s0, _Z47ncclDevFunc_AllReduce_RING_SIMPLE_Sum_u64_0_0_4v@rel32@lo+4
	s_addc_u32 s1, s1, _Z47ncclDevFunc_AllReduce_RING_SIMPLE_Sum_u64_0_0_4v@rel32@hi+12
	s_delay_alu instid0(SALU_CYCLE_1)
	s_swappc_b64 s[30:31], s[0:1]
.LBB2_253:                              ;   in Loop: Header=BB2_92 Depth=1
	s_mov_b32 s0, 0
.LBB2_254:                              ;   in Loop: Header=BB2_92 Depth=1
	s_delay_alu instid0(SALU_CYCLE_1)
	s_and_not1_b32 vcc_lo, exec_lo, s0
	s_cbranch_vccnz .LBB2_266
; %bb.255:                              ;   in Loop: Header=BB2_92 Depth=1
	s_cmpk_gt_u32 s48, 0x5a
	s_mov_b32 s0, -1
	s_cbranch_scc0 .LBB2_261
; %bb.256:                              ;   in Loop: Header=BB2_92 Depth=1
	s_cmpk_lg_i32 s48, 0x5b
	s_cbranch_scc0 .LBB2_258
; %bb.257:                              ;   in Loop: Header=BB2_92 Depth=1
	v_mov_b32_e32 v31, v40
	s_add_u32 s8, s36, 0x1000
	s_addc_u32 s9, s37, 0
	s_mov_b64 s[4:5], s[38:39]
	s_mov_b64 s[10:11], s[34:35]
	s_mov_b32 s12, s41
	s_mov_b32 s13, s40
	;; [unrolled: 1-line block ×3, first 2 shown]
	s_getpc_b64 s[0:1]
	s_add_u32 s0, s0, _Z47ncclDevFunc_AllReduce_RING_SIMPLE_Sum_u32_0_0_4v@rel32@lo+4
	s_addc_u32 s1, s1, _Z47ncclDevFunc_AllReduce_RING_SIMPLE_Sum_u32_0_0_4v@rel32@hi+12
	s_delay_alu instid0(SALU_CYCLE_1)
	s_swappc_b64 s[30:31], s[0:1]
	s_mov_b32 s0, 0
.LBB2_258:                              ;   in Loop: Header=BB2_92 Depth=1
	s_delay_alu instid0(SALU_CYCLE_1)
	s_and_not1_b32 vcc_lo, exec_lo, s0
	s_cbranch_vccnz .LBB2_260
; %bb.259:                              ;   in Loop: Header=BB2_92 Depth=1
	v_mov_b32_e32 v31, v40
	s_add_u32 s8, s36, 0x1000
	s_addc_u32 s9, s37, 0
	s_mov_b64 s[4:5], s[38:39]
	s_mov_b64 s[10:11], s[34:35]
	s_mov_b32 s12, s41
	s_mov_b32 s13, s40
	;; [unrolled: 1-line block ×3, first 2 shown]
	s_getpc_b64 s[0:1]
	s_add_u32 s0, s0, _Z46ncclDevFunc_AllReduce_RING_SIMPLE_Sum_u8_0_0_4v@rel32@lo+4
	s_addc_u32 s1, s1, _Z46ncclDevFunc_AllReduce_RING_SIMPLE_Sum_u8_0_0_4v@rel32@hi+12
	s_delay_alu instid0(SALU_CYCLE_1)
	s_swappc_b64 s[30:31], s[0:1]
.LBB2_260:                              ;   in Loop: Header=BB2_92 Depth=1
	s_mov_b32 s0, 0
.LBB2_261:                              ;   in Loop: Header=BB2_92 Depth=1
	s_delay_alu instid0(SALU_CYCLE_1)
	s_and_not1_b32 vcc_lo, exec_lo, s0
	s_cbranch_vccnz .LBB2_266
; %bb.262:                              ;   in Loop: Header=BB2_92 Depth=1
	s_cmpk_eq_i32 s48, 0x5a
	s_mov_b32 s0, -1
	s_cbranch_scc1 .LBB2_264
; %bb.263:                              ;   in Loop: Header=BB2_92 Depth=1
	v_mov_b32_e32 v31, v40
	s_add_u32 s8, s36, 0x1000
	s_addc_u32 s9, s37, 0
	s_mov_b64 s[4:5], s[38:39]
	s_mov_b64 s[10:11], s[34:35]
	s_mov_b32 s12, s41
	s_mov_b32 s13, s40
	;; [unrolled: 1-line block ×3, first 2 shown]
	s_getpc_b64 s[0:1]
	s_add_u32 s0, s0, _Z54ncclDevFunc_ReduceScatter_RING_LL_SumPostDiv_u32_0_0_4v@rel32@lo+4
	s_addc_u32 s1, s1, _Z54ncclDevFunc_ReduceScatter_RING_LL_SumPostDiv_u32_0_0_4v@rel32@hi+12
	s_delay_alu instid0(SALU_CYCLE_1)
	s_swappc_b64 s[30:31], s[0:1]
	s_mov_b32 s0, 0
.LBB2_264:                              ;   in Loop: Header=BB2_92 Depth=1
	s_delay_alu instid0(SALU_CYCLE_1)
	s_and_not1_b32 vcc_lo, exec_lo, s0
	s_cbranch_vccnz .LBB2_266
; %bb.265:                              ;   in Loop: Header=BB2_92 Depth=1
	v_mov_b32_e32 v31, v40
	s_add_u32 s8, s36, 0x1000
	s_addc_u32 s9, s37, 0
	s_mov_b64 s[4:5], s[38:39]
	s_mov_b64 s[10:11], s[34:35]
	s_mov_b32 s12, s41
	s_mov_b32 s13, s40
	s_mov_b32 s14, s33
	s_getpc_b64 s[0:1]
	s_add_u32 s0, s0, _Z54ncclDevFunc_ReduceScatter_RING_LL_SumPostDiv_u64_0_0_4v@rel32@lo+4
	s_addc_u32 s1, s1, _Z54ncclDevFunc_ReduceScatter_RING_LL_SumPostDiv_u64_0_0_4v@rel32@hi+12
	s_delay_alu instid0(SALU_CYCLE_1)
	s_swappc_b64 s[30:31], s[0:1]
.LBB2_266:                              ;   in Loop: Header=BB2_92 Depth=1
	s_mov_b32 s0, 0
.LBB2_267:                              ;   in Loop: Header=BB2_92 Depth=1
	s_delay_alu instid0(SALU_CYCLE_1)
	s_and_not1_b32 vcc_lo, exec_lo, s0
	s_cbranch_vccnz .LBB2_578
; %bb.268:                              ;   in Loop: Header=BB2_92 Depth=1
	s_delay_alu instid0(VALU_DEP_1)
	s_cmp_gt_u32 s48, 43
	s_mov_b32 s0, -1
	s_cbranch_scc0 .LBB2_423
; %bb.269:                              ;   in Loop: Header=BB2_92 Depth=1
	s_cmpk_gt_u32 s48, 0x41
	s_cbranch_scc0 .LBB2_352
; %bb.270:                              ;   in Loop: Header=BB2_92 Depth=1
	s_cmpk_gt_u32 s48, 0x4c
	;; [unrolled: 3-line block ×4, first 2 shown]
	s_cbranch_scc0 .LBB2_282
; %bb.273:                              ;   in Loop: Header=BB2_92 Depth=1
	v_cmp_gt_i16_e64 s0, 0x57, s48
	s_delay_alu instid0(VALU_DEP_1)
	s_and_b32 vcc_lo, exec_lo, s0
	s_mov_b32 s0, -1
	s_cbranch_vccnz .LBB2_279
; %bb.274:                              ;   in Loop: Header=BB2_92 Depth=1
	v_cmp_ne_u16_e64 s0, 0x57, s48
	s_delay_alu instid0(VALU_DEP_1)
	s_and_b32 vcc_lo, exec_lo, s0
	s_mov_b32 s0, -1
	s_cbranch_vccz .LBB2_276
; %bb.275:                              ;   in Loop: Header=BB2_92 Depth=1
	v_mov_b32_e32 v31, v40
	s_add_u32 s8, s36, 0x1000
	s_addc_u32 s9, s37, 0
	s_mov_b64 s[4:5], s[38:39]
	s_mov_b64 s[10:11], s[34:35]
	s_mov_b32 s12, s41
	s_mov_b32 s13, s40
	;; [unrolled: 1-line block ×3, first 2 shown]
	s_getpc_b64 s[0:1]
	s_add_u32 s0, s0, _Z53ncclDevFunc_ReduceScatter_RING_LL_SumPostDiv_u8_0_0_4v@rel32@lo+4
	s_addc_u32 s1, s1, _Z53ncclDevFunc_ReduceScatter_RING_LL_SumPostDiv_u8_0_0_4v@rel32@hi+12
	s_delay_alu instid0(SALU_CYCLE_1)
	s_swappc_b64 s[30:31], s[0:1]
	s_mov_b32 s0, 0
.LBB2_276:                              ;   in Loop: Header=BB2_92 Depth=1
	s_delay_alu instid0(SALU_CYCLE_1)
	s_and_not1_b32 vcc_lo, exec_lo, s0
	s_cbranch_vccnz .LBB2_278
; %bb.277:                              ;   in Loop: Header=BB2_92 Depth=1
	v_mov_b32_e32 v31, v40
	s_add_u32 s8, s36, 0x1000
	s_addc_u32 s9, s37, 0
	s_mov_b64 s[4:5], s[38:39]
	s_mov_b64 s[10:11], s[34:35]
	s_mov_b32 s12, s41
	s_mov_b32 s13, s40
	;; [unrolled: 1-line block ×3, first 2 shown]
	s_getpc_b64 s[0:1]
	s_add_u32 s0, s0, _Z56ncclDevFunc_ReduceScatter_RING_LL_PreMulSum_f8e5m2_0_0_4v@rel32@lo+4
	s_addc_u32 s1, s1, _Z56ncclDevFunc_ReduceScatter_RING_LL_PreMulSum_f8e5m2_0_0_4v@rel32@hi+12
	s_delay_alu instid0(SALU_CYCLE_1)
	s_swappc_b64 s[30:31], s[0:1]
.LBB2_278:                              ;   in Loop: Header=BB2_92 Depth=1
	s_mov_b32 s0, 0
.LBB2_279:                              ;   in Loop: Header=BB2_92 Depth=1
	s_delay_alu instid0(SALU_CYCLE_1)
	s_and_not1_b32 vcc_lo, exec_lo, s0
	s_cbranch_vccnz .LBB2_281
; %bb.280:                              ;   in Loop: Header=BB2_92 Depth=1
	v_mov_b32_e32 v31, v40
	s_add_u32 s8, s36, 0x1000
	s_addc_u32 s9, s37, 0
	s_mov_b64 s[4:5], s[38:39]
	s_mov_b64 s[10:11], s[34:35]
	s_mov_b32 s12, s41
	s_mov_b32 s13, s40
	;; [unrolled: 1-line block ×3, first 2 shown]
	s_getpc_b64 s[0:1]
	s_add_u32 s0, s0, _Z56ncclDevFunc_ReduceScatter_RING_LL_PreMulSum_f8e4m3_0_0_4v@rel32@lo+4
	s_addc_u32 s1, s1, _Z56ncclDevFunc_ReduceScatter_RING_LL_PreMulSum_f8e4m3_0_0_4v@rel32@hi+12
	s_delay_alu instid0(SALU_CYCLE_1)
	s_swappc_b64 s[30:31], s[0:1]
.LBB2_281:                              ;   in Loop: Header=BB2_92 Depth=1
	s_mov_b32 s0, 0
.LBB2_282:                              ;   in Loop: Header=BB2_92 Depth=1
	s_delay_alu instid0(SALU_CYCLE_1)
	s_and_b32 vcc_lo, exec_lo, s0
	s_cbranch_vccz .LBB2_291
; %bb.283:                              ;   in Loop: Header=BB2_92 Depth=1
	v_cmp_gt_i16_e64 s0, 0x54, s48
	s_delay_alu instid0(VALU_DEP_1)
	s_and_b32 vcc_lo, exec_lo, s0
	s_mov_b32 s0, -1
	s_cbranch_vccnz .LBB2_289
; %bb.284:                              ;   in Loop: Header=BB2_92 Depth=1
	v_cmp_ne_u16_e64 s0, 0x54, s48
	s_delay_alu instid0(VALU_DEP_1)
	s_and_b32 vcc_lo, exec_lo, s0
	s_mov_b32 s0, -1
	s_cbranch_vccz .LBB2_286
; %bb.285:                              ;   in Loop: Header=BB2_92 Depth=1
	v_mov_b32_e32 v31, v40
	s_add_u32 s8, s36, 0x1000
	s_addc_u32 s9, s37, 0
	s_mov_b64 s[4:5], s[38:39]
	s_mov_b64 s[10:11], s[34:35]
	s_mov_b32 s12, s41
	s_mov_b32 s13, s40
	;; [unrolled: 1-line block ×3, first 2 shown]
	s_getpc_b64 s[0:1]
	s_add_u32 s0, s0, _Z54ncclDevFunc_ReduceScatter_RING_LL_PreMulSum_bf16_0_0_4v@rel32@lo+4
	s_addc_u32 s1, s1, _Z54ncclDevFunc_ReduceScatter_RING_LL_PreMulSum_bf16_0_0_4v@rel32@hi+12
	s_delay_alu instid0(SALU_CYCLE_1)
	s_swappc_b64 s[30:31], s[0:1]
	s_mov_b32 s0, 0
.LBB2_286:                              ;   in Loop: Header=BB2_92 Depth=1
	s_delay_alu instid0(SALU_CYCLE_1)
	s_and_not1_b32 vcc_lo, exec_lo, s0
	s_cbranch_vccnz .LBB2_288
; %bb.287:                              ;   in Loop: Header=BB2_92 Depth=1
	v_mov_b32_e32 v31, v40
	s_add_u32 s8, s36, 0x1000
	s_addc_u32 s9, s37, 0
	s_mov_b64 s[4:5], s[38:39]
	s_mov_b64 s[10:11], s[34:35]
	s_mov_b32 s12, s41
	s_mov_b32 s13, s40
	;; [unrolled: 1-line block ×3, first 2 shown]
	s_getpc_b64 s[0:1]
	s_add_u32 s0, s0, _Z53ncclDevFunc_ReduceScatter_RING_LL_PreMulSum_f64_0_0_4v@rel32@lo+4
	s_addc_u32 s1, s1, _Z53ncclDevFunc_ReduceScatter_RING_LL_PreMulSum_f64_0_0_4v@rel32@hi+12
	s_delay_alu instid0(SALU_CYCLE_1)
	s_swappc_b64 s[30:31], s[0:1]
.LBB2_288:                              ;   in Loop: Header=BB2_92 Depth=1
	s_mov_b32 s0, 0
.LBB2_289:                              ;   in Loop: Header=BB2_92 Depth=1
	s_delay_alu instid0(SALU_CYCLE_1)
	s_and_not1_b32 vcc_lo, exec_lo, s0
	s_cbranch_vccnz .LBB2_291
; %bb.290:                              ;   in Loop: Header=BB2_92 Depth=1
	v_mov_b32_e32 v31, v40
	s_add_u32 s8, s36, 0x1000
	s_addc_u32 s9, s37, 0
	s_mov_b64 s[4:5], s[38:39]
	s_mov_b64 s[10:11], s[34:35]
	s_mov_b32 s12, s41
	s_mov_b32 s13, s40
	;; [unrolled: 1-line block ×3, first 2 shown]
	s_getpc_b64 s[0:1]
	s_add_u32 s0, s0, _Z53ncclDevFunc_ReduceScatter_RING_LL_PreMulSum_f32_0_0_4v@rel32@lo+4
	s_addc_u32 s1, s1, _Z53ncclDevFunc_ReduceScatter_RING_LL_PreMulSum_f32_0_0_4v@rel32@hi+12
	s_delay_alu instid0(SALU_CYCLE_1)
	s_swappc_b64 s[30:31], s[0:1]
.LBB2_291:                              ;   in Loop: Header=BB2_92 Depth=1
	s_mov_b32 s0, 0
.LBB2_292:                              ;   in Loop: Header=BB2_92 Depth=1
	s_delay_alu instid0(SALU_CYCLE_1)
	s_and_not1_b32 vcc_lo, exec_lo, s0
	s_cbranch_vccnz .LBB2_312
; %bb.293:                              ;   in Loop: Header=BB2_92 Depth=1
	s_cmpk_gt_u32 s48, 0x4f
	s_mov_b32 s0, -1
	s_cbranch_scc0 .LBB2_303
; %bb.294:                              ;   in Loop: Header=BB2_92 Depth=1
	v_cmp_gt_i16_e64 s0, 0x51, s48
	s_delay_alu instid0(VALU_DEP_1)
	s_and_b32 vcc_lo, exec_lo, s0
	s_mov_b32 s0, -1
	s_cbranch_vccnz .LBB2_300
; %bb.295:                              ;   in Loop: Header=BB2_92 Depth=1
	v_cmp_ne_u16_e64 s0, 0x51, s48
	s_delay_alu instid0(VALU_DEP_1)
	s_and_b32 vcc_lo, exec_lo, s0
	s_mov_b32 s0, -1
	s_cbranch_vccz .LBB2_297
; %bb.296:                              ;   in Loop: Header=BB2_92 Depth=1
	v_mov_b32_e32 v31, v40
	s_add_u32 s8, s36, 0x1000
	s_addc_u32 s9, s37, 0
	s_mov_b64 s[4:5], s[38:39]
	s_mov_b64 s[10:11], s[34:35]
	s_mov_b32 s12, s41
	s_mov_b32 s13, s40
	;; [unrolled: 1-line block ×3, first 2 shown]
	s_getpc_b64 s[0:1]
	s_add_u32 s0, s0, _Z53ncclDevFunc_ReduceScatter_RING_LL_PreMulSum_f16_0_0_4v@rel32@lo+4
	s_addc_u32 s1, s1, _Z53ncclDevFunc_ReduceScatter_RING_LL_PreMulSum_f16_0_0_4v@rel32@hi+12
	s_delay_alu instid0(SALU_CYCLE_1)
	s_swappc_b64 s[30:31], s[0:1]
	s_mov_b32 s0, 0
.LBB2_297:                              ;   in Loop: Header=BB2_92 Depth=1
	s_delay_alu instid0(SALU_CYCLE_1)
	s_and_not1_b32 vcc_lo, exec_lo, s0
	s_cbranch_vccnz .LBB2_299
; %bb.298:                              ;   in Loop: Header=BB2_92 Depth=1
	v_mov_b32_e32 v31, v40
	s_add_u32 s8, s36, 0x1000
	s_addc_u32 s9, s37, 0
	s_mov_b64 s[4:5], s[38:39]
	s_mov_b64 s[10:11], s[34:35]
	s_mov_b32 s12, s41
	s_mov_b32 s13, s40
	;; [unrolled: 1-line block ×3, first 2 shown]
	s_getpc_b64 s[0:1]
	s_add_u32 s0, s0, _Z53ncclDevFunc_ReduceScatter_RING_LL_PreMulSum_u64_0_0_4v@rel32@lo+4
	s_addc_u32 s1, s1, _Z53ncclDevFunc_ReduceScatter_RING_LL_PreMulSum_u64_0_0_4v@rel32@hi+12
	s_delay_alu instid0(SALU_CYCLE_1)
	s_swappc_b64 s[30:31], s[0:1]
.LBB2_299:                              ;   in Loop: Header=BB2_92 Depth=1
	s_mov_b32 s0, 0
.LBB2_300:                              ;   in Loop: Header=BB2_92 Depth=1
	s_delay_alu instid0(SALU_CYCLE_1)
	s_and_not1_b32 vcc_lo, exec_lo, s0
	s_cbranch_vccnz .LBB2_302
; %bb.301:                              ;   in Loop: Header=BB2_92 Depth=1
	v_mov_b32_e32 v31, v40
	s_add_u32 s8, s36, 0x1000
	s_addc_u32 s9, s37, 0
	s_mov_b64 s[4:5], s[38:39]
	s_mov_b64 s[10:11], s[34:35]
	s_mov_b32 s12, s41
	s_mov_b32 s13, s40
	s_mov_b32 s14, s33
	s_getpc_b64 s[0:1]
	s_add_u32 s0, s0, _Z53ncclDevFunc_ReduceScatter_RING_LL_PreMulSum_u32_0_0_4v@rel32@lo+4
	s_addc_u32 s1, s1, _Z53ncclDevFunc_ReduceScatter_RING_LL_PreMulSum_u32_0_0_4v@rel32@hi+12
	s_delay_alu instid0(SALU_CYCLE_1)
	s_swappc_b64 s[30:31], s[0:1]
.LBB2_302:                              ;   in Loop: Header=BB2_92 Depth=1
	s_mov_b32 s0, 0
.LBB2_303:                              ;   in Loop: Header=BB2_92 Depth=1
	s_delay_alu instid0(SALU_CYCLE_1)
	s_and_b32 vcc_lo, exec_lo, s0
	s_cbranch_vccz .LBB2_312
; %bb.304:                              ;   in Loop: Header=BB2_92 Depth=1
	v_cmp_gt_i16_e64 s0, 0x4e, s48
	s_delay_alu instid0(VALU_DEP_1)
	s_and_b32 vcc_lo, exec_lo, s0
	s_mov_b32 s0, -1
	s_cbranch_vccnz .LBB2_310
; %bb.305:                              ;   in Loop: Header=BB2_92 Depth=1
	v_cmp_ne_u16_e64 s0, 0x4e, s48
	s_delay_alu instid0(VALU_DEP_1)
	s_and_b32 vcc_lo, exec_lo, s0
	s_mov_b32 s0, -1
	s_cbranch_vccz .LBB2_307
; %bb.306:                              ;   in Loop: Header=BB2_92 Depth=1
	v_mov_b32_e32 v31, v40
	s_add_u32 s8, s36, 0x1000
	s_addc_u32 s9, s37, 0
	s_mov_b64 s[4:5], s[38:39]
	s_mov_b64 s[10:11], s[34:35]
	s_mov_b32 s12, s41
	s_mov_b32 s13, s40
	;; [unrolled: 1-line block ×3, first 2 shown]
	s_getpc_b64 s[0:1]
	s_add_u32 s0, s0, _Z52ncclDevFunc_ReduceScatter_RING_LL_PreMulSum_u8_0_0_4v@rel32@lo+4
	s_addc_u32 s1, s1, _Z52ncclDevFunc_ReduceScatter_RING_LL_PreMulSum_u8_0_0_4v@rel32@hi+12
	s_delay_alu instid0(SALU_CYCLE_1)
	s_swappc_b64 s[30:31], s[0:1]
	s_mov_b32 s0, 0
.LBB2_307:                              ;   in Loop: Header=BB2_92 Depth=1
	s_delay_alu instid0(SALU_CYCLE_1)
	s_and_not1_b32 vcc_lo, exec_lo, s0
	s_cbranch_vccnz .LBB2_309
; %bb.308:                              ;   in Loop: Header=BB2_92 Depth=1
	v_mov_b32_e32 v31, v40
	s_add_u32 s8, s36, 0x1000
	s_addc_u32 s9, s37, 0
	s_mov_b64 s[4:5], s[38:39]
	s_mov_b64 s[10:11], s[34:35]
	s_mov_b32 s12, s41
	s_mov_b32 s13, s40
	;; [unrolled: 1-line block ×3, first 2 shown]
	s_getpc_b64 s[0:1]
	s_add_u32 s0, s0, _Z53ncclDevFunc_ReduceScatter_RING_LL_MinMax_f8e5m2_0_0_4v@rel32@lo+4
	s_addc_u32 s1, s1, _Z53ncclDevFunc_ReduceScatter_RING_LL_MinMax_f8e5m2_0_0_4v@rel32@hi+12
	s_delay_alu instid0(SALU_CYCLE_1)
	s_swappc_b64 s[30:31], s[0:1]
.LBB2_309:                              ;   in Loop: Header=BB2_92 Depth=1
	s_mov_b32 s0, 0
.LBB2_310:                              ;   in Loop: Header=BB2_92 Depth=1
	s_delay_alu instid0(SALU_CYCLE_1)
	s_and_not1_b32 vcc_lo, exec_lo, s0
	s_cbranch_vccnz .LBB2_312
; %bb.311:                              ;   in Loop: Header=BB2_92 Depth=1
	v_mov_b32_e32 v31, v40
	s_add_u32 s8, s36, 0x1000
	s_addc_u32 s9, s37, 0
	s_mov_b64 s[4:5], s[38:39]
	s_mov_b64 s[10:11], s[34:35]
	s_mov_b32 s12, s41
	s_mov_b32 s13, s40
	;; [unrolled: 1-line block ×3, first 2 shown]
	s_getpc_b64 s[0:1]
	s_add_u32 s0, s0, _Z53ncclDevFunc_ReduceScatter_RING_LL_MinMax_f8e4m3_0_0_4v@rel32@lo+4
	s_addc_u32 s1, s1, _Z53ncclDevFunc_ReduceScatter_RING_LL_MinMax_f8e4m3_0_0_4v@rel32@hi+12
	s_delay_alu instid0(SALU_CYCLE_1)
	s_swappc_b64 s[30:31], s[0:1]
.LBB2_312:                              ;   in Loop: Header=BB2_92 Depth=1
	s_mov_b32 s0, 0
.LBB2_313:                              ;   in Loop: Header=BB2_92 Depth=1
	s_delay_alu instid0(SALU_CYCLE_1)
	s_and_not1_b32 vcc_lo, exec_lo, s0
	s_cbranch_vccnz .LBB2_351
; %bb.314:                              ;   in Loop: Header=BB2_92 Depth=1
	s_cmpk_gt_u32 s48, 0x46
	s_mov_b32 s0, -1
	s_cbranch_scc0 .LBB2_335
; %bb.315:                              ;   in Loop: Header=BB2_92 Depth=1
	s_cmpk_gt_u32 s48, 0x49
	s_cbranch_scc0 .LBB2_325
; %bb.316:                              ;   in Loop: Header=BB2_92 Depth=1
	v_cmp_gt_i16_e64 s0, 0x4b, s48
	s_delay_alu instid0(VALU_DEP_1)
	s_and_b32 vcc_lo, exec_lo, s0
	s_mov_b32 s0, -1
	s_cbranch_vccnz .LBB2_322
; %bb.317:                              ;   in Loop: Header=BB2_92 Depth=1
	v_cmp_ne_u16_e64 s0, 0x4b, s48
	s_delay_alu instid0(VALU_DEP_1)
	s_and_b32 vcc_lo, exec_lo, s0
	s_mov_b32 s0, -1
	s_cbranch_vccz .LBB2_319
; %bb.318:                              ;   in Loop: Header=BB2_92 Depth=1
	v_mov_b32_e32 v31, v40
	s_add_u32 s8, s36, 0x1000
	s_addc_u32 s9, s37, 0
	s_mov_b64 s[4:5], s[38:39]
	s_mov_b64 s[10:11], s[34:35]
	s_mov_b32 s12, s41
	s_mov_b32 s13, s40
	;; [unrolled: 1-line block ×3, first 2 shown]
	s_getpc_b64 s[0:1]
	s_add_u32 s0, s0, _Z51ncclDevFunc_ReduceScatter_RING_LL_MinMax_bf16_0_0_4v@rel32@lo+4
	s_addc_u32 s1, s1, _Z51ncclDevFunc_ReduceScatter_RING_LL_MinMax_bf16_0_0_4v@rel32@hi+12
	s_delay_alu instid0(SALU_CYCLE_1)
	s_swappc_b64 s[30:31], s[0:1]
	s_mov_b32 s0, 0
.LBB2_319:                              ;   in Loop: Header=BB2_92 Depth=1
	s_delay_alu instid0(SALU_CYCLE_1)
	s_and_not1_b32 vcc_lo, exec_lo, s0
	s_cbranch_vccnz .LBB2_321
; %bb.320:                              ;   in Loop: Header=BB2_92 Depth=1
	v_mov_b32_e32 v31, v40
	s_add_u32 s8, s36, 0x1000
	s_addc_u32 s9, s37, 0
	s_mov_b64 s[4:5], s[38:39]
	s_mov_b64 s[10:11], s[34:35]
	s_mov_b32 s12, s41
	s_mov_b32 s13, s40
	;; [unrolled: 1-line block ×3, first 2 shown]
	s_getpc_b64 s[0:1]
	s_add_u32 s0, s0, _Z50ncclDevFunc_ReduceScatter_RING_LL_MinMax_f64_0_0_4v@rel32@lo+4
	s_addc_u32 s1, s1, _Z50ncclDevFunc_ReduceScatter_RING_LL_MinMax_f64_0_0_4v@rel32@hi+12
	s_delay_alu instid0(SALU_CYCLE_1)
	s_swappc_b64 s[30:31], s[0:1]
.LBB2_321:                              ;   in Loop: Header=BB2_92 Depth=1
	s_mov_b32 s0, 0
.LBB2_322:                              ;   in Loop: Header=BB2_92 Depth=1
	s_delay_alu instid0(SALU_CYCLE_1)
	s_and_not1_b32 vcc_lo, exec_lo, s0
	s_cbranch_vccnz .LBB2_324
; %bb.323:                              ;   in Loop: Header=BB2_92 Depth=1
	v_mov_b32_e32 v31, v40
	s_add_u32 s8, s36, 0x1000
	s_addc_u32 s9, s37, 0
	s_mov_b64 s[4:5], s[38:39]
	s_mov_b64 s[10:11], s[34:35]
	s_mov_b32 s12, s41
	s_mov_b32 s13, s40
	;; [unrolled: 1-line block ×3, first 2 shown]
	s_getpc_b64 s[0:1]
	s_add_u32 s0, s0, _Z50ncclDevFunc_ReduceScatter_RING_LL_MinMax_f32_0_0_4v@rel32@lo+4
	s_addc_u32 s1, s1, _Z50ncclDevFunc_ReduceScatter_RING_LL_MinMax_f32_0_0_4v@rel32@hi+12
	s_delay_alu instid0(SALU_CYCLE_1)
	s_swappc_b64 s[30:31], s[0:1]
.LBB2_324:                              ;   in Loop: Header=BB2_92 Depth=1
	s_mov_b32 s0, 0
.LBB2_325:                              ;   in Loop: Header=BB2_92 Depth=1
	s_delay_alu instid0(SALU_CYCLE_1)
	s_and_b32 vcc_lo, exec_lo, s0
	s_cbranch_vccz .LBB2_334
; %bb.326:                              ;   in Loop: Header=BB2_92 Depth=1
	v_cmp_gt_i16_e64 s0, 0x48, s48
	s_delay_alu instid0(VALU_DEP_1)
	s_and_b32 vcc_lo, exec_lo, s0
	s_mov_b32 s0, -1
	s_cbranch_vccnz .LBB2_332
; %bb.327:                              ;   in Loop: Header=BB2_92 Depth=1
	v_cmp_ne_u16_e64 s0, 0x48, s48
	s_delay_alu instid0(VALU_DEP_1)
	s_and_b32 vcc_lo, exec_lo, s0
	s_mov_b32 s0, -1
	s_cbranch_vccz .LBB2_329
; %bb.328:                              ;   in Loop: Header=BB2_92 Depth=1
	v_mov_b32_e32 v31, v40
	s_add_u32 s8, s36, 0x1000
	s_addc_u32 s9, s37, 0
	s_mov_b64 s[4:5], s[38:39]
	s_mov_b64 s[10:11], s[34:35]
	s_mov_b32 s12, s41
	s_mov_b32 s13, s40
	;; [unrolled: 1-line block ×3, first 2 shown]
	s_getpc_b64 s[0:1]
	s_add_u32 s0, s0, _Z50ncclDevFunc_ReduceScatter_RING_LL_MinMax_f16_0_0_4v@rel32@lo+4
	s_addc_u32 s1, s1, _Z50ncclDevFunc_ReduceScatter_RING_LL_MinMax_f16_0_0_4v@rel32@hi+12
	s_delay_alu instid0(SALU_CYCLE_1)
	s_swappc_b64 s[30:31], s[0:1]
	s_mov_b32 s0, 0
.LBB2_329:                              ;   in Loop: Header=BB2_92 Depth=1
	s_delay_alu instid0(SALU_CYCLE_1)
	s_and_not1_b32 vcc_lo, exec_lo, s0
	s_cbranch_vccnz .LBB2_331
; %bb.330:                              ;   in Loop: Header=BB2_92 Depth=1
	v_mov_b32_e32 v31, v40
	s_add_u32 s8, s36, 0x1000
	s_addc_u32 s9, s37, 0
	s_mov_b64 s[4:5], s[38:39]
	s_mov_b64 s[10:11], s[34:35]
	s_mov_b32 s12, s41
	s_mov_b32 s13, s40
	;; [unrolled: 1-line block ×3, first 2 shown]
	s_getpc_b64 s[0:1]
	s_add_u32 s0, s0, _Z50ncclDevFunc_ReduceScatter_RING_LL_MinMax_u64_0_0_4v@rel32@lo+4
	s_addc_u32 s1, s1, _Z50ncclDevFunc_ReduceScatter_RING_LL_MinMax_u64_0_0_4v@rel32@hi+12
	s_delay_alu instid0(SALU_CYCLE_1)
	s_swappc_b64 s[30:31], s[0:1]
.LBB2_331:                              ;   in Loop: Header=BB2_92 Depth=1
	s_mov_b32 s0, 0
.LBB2_332:                              ;   in Loop: Header=BB2_92 Depth=1
	s_delay_alu instid0(SALU_CYCLE_1)
	s_and_not1_b32 vcc_lo, exec_lo, s0
	s_cbranch_vccnz .LBB2_334
; %bb.333:                              ;   in Loop: Header=BB2_92 Depth=1
	v_mov_b32_e32 v31, v40
	s_add_u32 s8, s36, 0x1000
	s_addc_u32 s9, s37, 0
	s_mov_b64 s[4:5], s[38:39]
	s_mov_b64 s[10:11], s[34:35]
	s_mov_b32 s12, s41
	s_mov_b32 s13, s40
	;; [unrolled: 1-line block ×3, first 2 shown]
	s_getpc_b64 s[0:1]
	s_add_u32 s0, s0, _Z50ncclDevFunc_ReduceScatter_RING_LL_MinMax_u32_0_0_4v@rel32@lo+4
	s_addc_u32 s1, s1, _Z50ncclDevFunc_ReduceScatter_RING_LL_MinMax_u32_0_0_4v@rel32@hi+12
	s_delay_alu instid0(SALU_CYCLE_1)
	s_swappc_b64 s[30:31], s[0:1]
.LBB2_334:                              ;   in Loop: Header=BB2_92 Depth=1
	s_mov_b32 s0, 0
.LBB2_335:                              ;   in Loop: Header=BB2_92 Depth=1
	s_delay_alu instid0(SALU_CYCLE_1)
	s_and_not1_b32 vcc_lo, exec_lo, s0
	s_cbranch_vccnz .LBB2_351
; %bb.336:                              ;   in Loop: Header=BB2_92 Depth=1
	s_cmpk_gt_u32 s48, 0x43
	s_mov_b32 s0, -1
	s_cbranch_scc0 .LBB2_346
; %bb.337:                              ;   in Loop: Header=BB2_92 Depth=1
	v_cmp_gt_i16_e64 s0, 0x45, s48
	s_delay_alu instid0(VALU_DEP_1)
	s_and_b32 vcc_lo, exec_lo, s0
	s_mov_b32 s0, -1
	s_cbranch_vccnz .LBB2_343
; %bb.338:                              ;   in Loop: Header=BB2_92 Depth=1
	v_cmp_ne_u16_e64 s0, 0x45, s48
	s_delay_alu instid0(VALU_DEP_1)
	s_and_b32 vcc_lo, exec_lo, s0
	s_mov_b32 s0, -1
	s_cbranch_vccz .LBB2_340
; %bb.339:                              ;   in Loop: Header=BB2_92 Depth=1
	v_mov_b32_e32 v31, v40
	s_add_u32 s8, s36, 0x1000
	s_addc_u32 s9, s37, 0
	s_mov_b64 s[4:5], s[38:39]
	s_mov_b64 s[10:11], s[34:35]
	s_mov_b32 s12, s41
	s_mov_b32 s13, s40
	;; [unrolled: 1-line block ×3, first 2 shown]
	s_getpc_b64 s[0:1]
	s_add_u32 s0, s0, _Z49ncclDevFunc_ReduceScatter_RING_LL_MinMax_u8_0_0_4v@rel32@lo+4
	s_addc_u32 s1, s1, _Z49ncclDevFunc_ReduceScatter_RING_LL_MinMax_u8_0_0_4v@rel32@hi+12
	s_delay_alu instid0(SALU_CYCLE_1)
	s_swappc_b64 s[30:31], s[0:1]
	s_mov_b32 s0, 0
.LBB2_340:                              ;   in Loop: Header=BB2_92 Depth=1
	s_delay_alu instid0(SALU_CYCLE_1)
	s_and_not1_b32 vcc_lo, exec_lo, s0
	s_cbranch_vccnz .LBB2_342
; %bb.341:                              ;   in Loop: Header=BB2_92 Depth=1
	v_mov_b32_e32 v31, v40
	s_add_u32 s8, s36, 0x1000
	s_addc_u32 s9, s37, 0
	s_mov_b64 s[4:5], s[38:39]
	s_mov_b64 s[10:11], s[34:35]
	s_mov_b32 s12, s41
	s_mov_b32 s13, s40
	;; [unrolled: 1-line block ×3, first 2 shown]
	s_getpc_b64 s[0:1]
	s_add_u32 s0, s0, _Z51ncclDevFunc_ReduceScatter_RING_LL_Prod_f8e5m2_0_0_4v@rel32@lo+4
	s_addc_u32 s1, s1, _Z51ncclDevFunc_ReduceScatter_RING_LL_Prod_f8e5m2_0_0_4v@rel32@hi+12
	s_delay_alu instid0(SALU_CYCLE_1)
	s_swappc_b64 s[30:31], s[0:1]
.LBB2_342:                              ;   in Loop: Header=BB2_92 Depth=1
	s_mov_b32 s0, 0
.LBB2_343:                              ;   in Loop: Header=BB2_92 Depth=1
	s_delay_alu instid0(SALU_CYCLE_1)
	s_and_not1_b32 vcc_lo, exec_lo, s0
	s_cbranch_vccnz .LBB2_345
; %bb.344:                              ;   in Loop: Header=BB2_92 Depth=1
	v_mov_b32_e32 v31, v40
	s_add_u32 s8, s36, 0x1000
	s_addc_u32 s9, s37, 0
	s_mov_b64 s[4:5], s[38:39]
	s_mov_b64 s[10:11], s[34:35]
	s_mov_b32 s12, s41
	s_mov_b32 s13, s40
	;; [unrolled: 1-line block ×3, first 2 shown]
	s_getpc_b64 s[0:1]
	s_add_u32 s0, s0, _Z51ncclDevFunc_ReduceScatter_RING_LL_Prod_f8e4m3_0_0_4v@rel32@lo+4
	s_addc_u32 s1, s1, _Z51ncclDevFunc_ReduceScatter_RING_LL_Prod_f8e4m3_0_0_4v@rel32@hi+12
	s_delay_alu instid0(SALU_CYCLE_1)
	s_swappc_b64 s[30:31], s[0:1]
.LBB2_345:                              ;   in Loop: Header=BB2_92 Depth=1
	s_mov_b32 s0, 0
.LBB2_346:                              ;   in Loop: Header=BB2_92 Depth=1
	s_delay_alu instid0(SALU_CYCLE_1)
	s_and_b32 vcc_lo, exec_lo, s0
	s_cbranch_vccz .LBB2_351
; %bb.347:                              ;   in Loop: Header=BB2_92 Depth=1
	s_cmpk_eq_i32 s48, 0x43
	s_mov_b32 s0, -1
	s_cbranch_scc1 .LBB2_349
; %bb.348:                              ;   in Loop: Header=BB2_92 Depth=1
	v_mov_b32_e32 v31, v40
	s_add_u32 s8, s36, 0x1000
	s_addc_u32 s9, s37, 0
	s_mov_b64 s[4:5], s[38:39]
	s_mov_b64 s[10:11], s[34:35]
	s_mov_b32 s12, s41
	s_mov_b32 s13, s40
	;; [unrolled: 1-line block ×3, first 2 shown]
	s_getpc_b64 s[0:1]
	s_add_u32 s0, s0, _Z48ncclDevFunc_ReduceScatter_RING_LL_Prod_f64_0_0_4v@rel32@lo+4
	s_addc_u32 s1, s1, _Z48ncclDevFunc_ReduceScatter_RING_LL_Prod_f64_0_0_4v@rel32@hi+12
	s_delay_alu instid0(SALU_CYCLE_1)
	s_swappc_b64 s[30:31], s[0:1]
	s_mov_b32 s0, 0
.LBB2_349:                              ;   in Loop: Header=BB2_92 Depth=1
	s_delay_alu instid0(SALU_CYCLE_1)
	s_and_not1_b32 vcc_lo, exec_lo, s0
	s_cbranch_vccnz .LBB2_351
; %bb.350:                              ;   in Loop: Header=BB2_92 Depth=1
	v_mov_b32_e32 v31, v40
	s_add_u32 s8, s36, 0x1000
	s_addc_u32 s9, s37, 0
	s_mov_b64 s[4:5], s[38:39]
	s_mov_b64 s[10:11], s[34:35]
	s_mov_b32 s12, s41
	s_mov_b32 s13, s40
	;; [unrolled: 1-line block ×3, first 2 shown]
	s_getpc_b64 s[0:1]
	s_add_u32 s0, s0, _Z49ncclDevFunc_ReduceScatter_RING_LL_Prod_bf16_0_0_4v@rel32@lo+4
	s_addc_u32 s1, s1, _Z49ncclDevFunc_ReduceScatter_RING_LL_Prod_bf16_0_0_4v@rel32@hi+12
	s_delay_alu instid0(SALU_CYCLE_1)
	s_swappc_b64 s[30:31], s[0:1]
.LBB2_351:                              ;   in Loop: Header=BB2_92 Depth=1
	s_mov_b32 s0, 0
.LBB2_352:                              ;   in Loop: Header=BB2_92 Depth=1
	s_delay_alu instid0(SALU_CYCLE_1)
	s_and_not1_b32 vcc_lo, exec_lo, s0
	s_cbranch_vccnz .LBB2_422
; %bb.353:                              ;   in Loop: Header=BB2_92 Depth=1
	s_cmp_gt_u32 s48, 54
	s_mov_b32 s0, -1
	s_cbranch_scc0 .LBB2_392
; %bb.354:                              ;   in Loop: Header=BB2_92 Depth=1
	s_cmp_gt_u32 s48, 59
	s_cbranch_scc0 .LBB2_375
; %bb.355:                              ;   in Loop: Header=BB2_92 Depth=1
	s_cmp_gt_u32 s48, 62
	s_cbranch_scc0 .LBB2_365
; %bb.356:                              ;   in Loop: Header=BB2_92 Depth=1
	v_cmp_lt_i16_e64 s0, s48, 64
	s_delay_alu instid0(VALU_DEP_1)
	s_and_b32 vcc_lo, exec_lo, s0
	s_mov_b32 s0, -1
	s_cbranch_vccnz .LBB2_362
; %bb.357:                              ;   in Loop: Header=BB2_92 Depth=1
	v_cmp_ne_u16_e64 s0, s48, 64
	s_delay_alu instid0(VALU_DEP_1)
	s_and_b32 vcc_lo, exec_lo, s0
	s_mov_b32 s0, -1
	s_cbranch_vccz .LBB2_359
; %bb.358:                              ;   in Loop: Header=BB2_92 Depth=1
	v_mov_b32_e32 v31, v40
	s_add_u32 s8, s36, 0x1000
	s_addc_u32 s9, s37, 0
	s_mov_b64 s[4:5], s[38:39]
	s_mov_b64 s[10:11], s[34:35]
	s_mov_b32 s12, s41
	s_mov_b32 s13, s40
	;; [unrolled: 1-line block ×3, first 2 shown]
	s_getpc_b64 s[0:1]
	s_add_u32 s0, s0, _Z48ncclDevFunc_ReduceScatter_RING_LL_Prod_f32_0_0_4v@rel32@lo+4
	s_addc_u32 s1, s1, _Z48ncclDevFunc_ReduceScatter_RING_LL_Prod_f32_0_0_4v@rel32@hi+12
	s_delay_alu instid0(SALU_CYCLE_1)
	s_swappc_b64 s[30:31], s[0:1]
	s_mov_b32 s0, 0
.LBB2_359:                              ;   in Loop: Header=BB2_92 Depth=1
	s_delay_alu instid0(SALU_CYCLE_1)
	s_and_not1_b32 vcc_lo, exec_lo, s0
	s_cbranch_vccnz .LBB2_361
; %bb.360:                              ;   in Loop: Header=BB2_92 Depth=1
	v_mov_b32_e32 v31, v40
	s_add_u32 s8, s36, 0x1000
	s_addc_u32 s9, s37, 0
	s_mov_b64 s[4:5], s[38:39]
	s_mov_b64 s[10:11], s[34:35]
	s_mov_b32 s12, s41
	s_mov_b32 s13, s40
	;; [unrolled: 1-line block ×3, first 2 shown]
	s_getpc_b64 s[0:1]
	s_add_u32 s0, s0, _Z48ncclDevFunc_ReduceScatter_RING_LL_Prod_f16_0_0_4v@rel32@lo+4
	s_addc_u32 s1, s1, _Z48ncclDevFunc_ReduceScatter_RING_LL_Prod_f16_0_0_4v@rel32@hi+12
	s_delay_alu instid0(SALU_CYCLE_1)
	s_swappc_b64 s[30:31], s[0:1]
.LBB2_361:                              ;   in Loop: Header=BB2_92 Depth=1
	s_mov_b32 s0, 0
.LBB2_362:                              ;   in Loop: Header=BB2_92 Depth=1
	s_delay_alu instid0(SALU_CYCLE_1)
	s_and_not1_b32 vcc_lo, exec_lo, s0
	s_cbranch_vccnz .LBB2_364
; %bb.363:                              ;   in Loop: Header=BB2_92 Depth=1
	v_mov_b32_e32 v31, v40
	s_add_u32 s8, s36, 0x1000
	s_addc_u32 s9, s37, 0
	s_mov_b64 s[4:5], s[38:39]
	s_mov_b64 s[10:11], s[34:35]
	s_mov_b32 s12, s41
	s_mov_b32 s13, s40
	;; [unrolled: 1-line block ×3, first 2 shown]
	s_getpc_b64 s[0:1]
	s_add_u32 s0, s0, _Z48ncclDevFunc_ReduceScatter_RING_LL_Prod_u64_0_0_4v@rel32@lo+4
	s_addc_u32 s1, s1, _Z48ncclDevFunc_ReduceScatter_RING_LL_Prod_u64_0_0_4v@rel32@hi+12
	s_delay_alu instid0(SALU_CYCLE_1)
	s_swappc_b64 s[30:31], s[0:1]
.LBB2_364:                              ;   in Loop: Header=BB2_92 Depth=1
	s_mov_b32 s0, 0
.LBB2_365:                              ;   in Loop: Header=BB2_92 Depth=1
	s_delay_alu instid0(SALU_CYCLE_1)
	s_and_b32 vcc_lo, exec_lo, s0
	s_cbranch_vccz .LBB2_374
; %bb.366:                              ;   in Loop: Header=BB2_92 Depth=1
	v_cmp_lt_i16_e64 s0, s48, 61
	s_delay_alu instid0(VALU_DEP_1)
	s_and_b32 vcc_lo, exec_lo, s0
	s_mov_b32 s0, -1
	s_cbranch_vccnz .LBB2_372
; %bb.367:                              ;   in Loop: Header=BB2_92 Depth=1
	v_cmp_ne_u16_e64 s0, s48, 61
	s_delay_alu instid0(VALU_DEP_1)
	s_and_b32 vcc_lo, exec_lo, s0
	s_mov_b32 s0, -1
	s_cbranch_vccz .LBB2_369
; %bb.368:                              ;   in Loop: Header=BB2_92 Depth=1
	v_mov_b32_e32 v31, v40
	s_add_u32 s8, s36, 0x1000
	s_addc_u32 s9, s37, 0
	s_mov_b64 s[4:5], s[38:39]
	s_mov_b64 s[10:11], s[34:35]
	s_mov_b32 s12, s41
	s_mov_b32 s13, s40
	;; [unrolled: 1-line block ×3, first 2 shown]
	s_getpc_b64 s[0:1]
	s_add_u32 s0, s0, _Z48ncclDevFunc_ReduceScatter_RING_LL_Prod_u32_0_0_4v@rel32@lo+4
	s_addc_u32 s1, s1, _Z48ncclDevFunc_ReduceScatter_RING_LL_Prod_u32_0_0_4v@rel32@hi+12
	s_delay_alu instid0(SALU_CYCLE_1)
	s_swappc_b64 s[30:31], s[0:1]
	s_mov_b32 s0, 0
.LBB2_369:                              ;   in Loop: Header=BB2_92 Depth=1
	s_delay_alu instid0(SALU_CYCLE_1)
	s_and_not1_b32 vcc_lo, exec_lo, s0
	s_cbranch_vccnz .LBB2_371
; %bb.370:                              ;   in Loop: Header=BB2_92 Depth=1
	v_mov_b32_e32 v31, v40
	s_add_u32 s8, s36, 0x1000
	s_addc_u32 s9, s37, 0
	s_mov_b64 s[4:5], s[38:39]
	s_mov_b64 s[10:11], s[34:35]
	s_mov_b32 s12, s41
	s_mov_b32 s13, s40
	;; [unrolled: 1-line block ×3, first 2 shown]
	s_getpc_b64 s[0:1]
	s_add_u32 s0, s0, _Z47ncclDevFunc_ReduceScatter_RING_LL_Prod_u8_0_0_4v@rel32@lo+4
	s_addc_u32 s1, s1, _Z47ncclDevFunc_ReduceScatter_RING_LL_Prod_u8_0_0_4v@rel32@hi+12
	s_delay_alu instid0(SALU_CYCLE_1)
	s_swappc_b64 s[30:31], s[0:1]
.LBB2_371:                              ;   in Loop: Header=BB2_92 Depth=1
	s_mov_b32 s0, 0
.LBB2_372:                              ;   in Loop: Header=BB2_92 Depth=1
	s_delay_alu instid0(SALU_CYCLE_1)
	s_and_not1_b32 vcc_lo, exec_lo, s0
	s_cbranch_vccnz .LBB2_374
; %bb.373:                              ;   in Loop: Header=BB2_92 Depth=1
	v_mov_b32_e32 v31, v40
	s_add_u32 s8, s36, 0x1000
	s_addc_u32 s9, s37, 0
	s_mov_b64 s[4:5], s[38:39]
	s_mov_b64 s[10:11], s[34:35]
	s_mov_b32 s12, s41
	s_mov_b32 s13, s40
	;; [unrolled: 1-line block ×3, first 2 shown]
	s_getpc_b64 s[0:1]
	s_add_u32 s0, s0, _Z50ncclDevFunc_ReduceScatter_RING_LL_Sum_f8e5m2_0_0_4v@rel32@lo+4
	s_addc_u32 s1, s1, _Z50ncclDevFunc_ReduceScatter_RING_LL_Sum_f8e5m2_0_0_4v@rel32@hi+12
	s_delay_alu instid0(SALU_CYCLE_1)
	s_swappc_b64 s[30:31], s[0:1]
.LBB2_374:                              ;   in Loop: Header=BB2_92 Depth=1
	s_mov_b32 s0, 0
.LBB2_375:                              ;   in Loop: Header=BB2_92 Depth=1
	s_delay_alu instid0(SALU_CYCLE_1)
	s_and_not1_b32 vcc_lo, exec_lo, s0
	s_cbranch_vccnz .LBB2_391
; %bb.376:                              ;   in Loop: Header=BB2_92 Depth=1
	s_cmp_gt_u32 s48, 56
	s_mov_b32 s0, -1
	s_cbranch_scc0 .LBB2_386
; %bb.377:                              ;   in Loop: Header=BB2_92 Depth=1
	v_cmp_lt_i16_e64 s0, s48, 58
	s_delay_alu instid0(VALU_DEP_1)
	s_and_b32 vcc_lo, exec_lo, s0
	s_mov_b32 s0, -1
	s_cbranch_vccnz .LBB2_383
; %bb.378:                              ;   in Loop: Header=BB2_92 Depth=1
	v_cmp_ne_u16_e64 s0, s48, 58
	s_delay_alu instid0(VALU_DEP_1)
	s_and_b32 vcc_lo, exec_lo, s0
	s_mov_b32 s0, -1
	s_cbranch_vccz .LBB2_380
; %bb.379:                              ;   in Loop: Header=BB2_92 Depth=1
	v_mov_b32_e32 v31, v40
	s_add_u32 s8, s36, 0x1000
	s_addc_u32 s9, s37, 0
	s_mov_b64 s[4:5], s[38:39]
	s_mov_b64 s[10:11], s[34:35]
	s_mov_b32 s12, s41
	s_mov_b32 s13, s40
	;; [unrolled: 1-line block ×3, first 2 shown]
	s_getpc_b64 s[0:1]
	s_add_u32 s0, s0, _Z50ncclDevFunc_ReduceScatter_RING_LL_Sum_f8e4m3_0_0_4v@rel32@lo+4
	s_addc_u32 s1, s1, _Z50ncclDevFunc_ReduceScatter_RING_LL_Sum_f8e4m3_0_0_4v@rel32@hi+12
	s_delay_alu instid0(SALU_CYCLE_1)
	s_swappc_b64 s[30:31], s[0:1]
	s_mov_b32 s0, 0
.LBB2_380:                              ;   in Loop: Header=BB2_92 Depth=1
	s_delay_alu instid0(SALU_CYCLE_1)
	s_and_not1_b32 vcc_lo, exec_lo, s0
	s_cbranch_vccnz .LBB2_382
; %bb.381:                              ;   in Loop: Header=BB2_92 Depth=1
	v_mov_b32_e32 v31, v40
	s_add_u32 s8, s36, 0x1000
	s_addc_u32 s9, s37, 0
	s_mov_b64 s[4:5], s[38:39]
	s_mov_b64 s[10:11], s[34:35]
	s_mov_b32 s12, s41
	s_mov_b32 s13, s40
	;; [unrolled: 1-line block ×3, first 2 shown]
	s_getpc_b64 s[0:1]
	s_add_u32 s0, s0, _Z48ncclDevFunc_ReduceScatter_RING_LL_Sum_bf16_0_0_4v@rel32@lo+4
	s_addc_u32 s1, s1, _Z48ncclDevFunc_ReduceScatter_RING_LL_Sum_bf16_0_0_4v@rel32@hi+12
	s_delay_alu instid0(SALU_CYCLE_1)
	s_swappc_b64 s[30:31], s[0:1]
.LBB2_382:                              ;   in Loop: Header=BB2_92 Depth=1
	s_mov_b32 s0, 0
.LBB2_383:                              ;   in Loop: Header=BB2_92 Depth=1
	s_delay_alu instid0(SALU_CYCLE_1)
	s_and_not1_b32 vcc_lo, exec_lo, s0
	s_cbranch_vccnz .LBB2_385
; %bb.384:                              ;   in Loop: Header=BB2_92 Depth=1
	v_mov_b32_e32 v31, v40
	s_add_u32 s8, s36, 0x1000
	s_addc_u32 s9, s37, 0
	s_mov_b64 s[4:5], s[38:39]
	s_mov_b64 s[10:11], s[34:35]
	s_mov_b32 s12, s41
	s_mov_b32 s13, s40
	;; [unrolled: 1-line block ×3, first 2 shown]
	s_getpc_b64 s[0:1]
	s_add_u32 s0, s0, _Z47ncclDevFunc_ReduceScatter_RING_LL_Sum_f64_0_0_4v@rel32@lo+4
	s_addc_u32 s1, s1, _Z47ncclDevFunc_ReduceScatter_RING_LL_Sum_f64_0_0_4v@rel32@hi+12
	s_delay_alu instid0(SALU_CYCLE_1)
	s_swappc_b64 s[30:31], s[0:1]
.LBB2_385:                              ;   in Loop: Header=BB2_92 Depth=1
	s_mov_b32 s0, 0
.LBB2_386:                              ;   in Loop: Header=BB2_92 Depth=1
	s_delay_alu instid0(SALU_CYCLE_1)
	s_and_b32 vcc_lo, exec_lo, s0
	s_cbranch_vccz .LBB2_391
; %bb.387:                              ;   in Loop: Header=BB2_92 Depth=1
	s_cmp_eq_u32 s48, 56
	s_mov_b32 s0, -1
	s_cbranch_scc1 .LBB2_389
; %bb.388:                              ;   in Loop: Header=BB2_92 Depth=1
	v_mov_b32_e32 v31, v40
	s_add_u32 s8, s36, 0x1000
	s_addc_u32 s9, s37, 0
	s_mov_b64 s[4:5], s[38:39]
	s_mov_b64 s[10:11], s[34:35]
	s_mov_b32 s12, s41
	s_mov_b32 s13, s40
	;; [unrolled: 1-line block ×3, first 2 shown]
	s_getpc_b64 s[0:1]
	s_add_u32 s0, s0, _Z47ncclDevFunc_ReduceScatter_RING_LL_Sum_f16_0_0_4v@rel32@lo+4
	s_addc_u32 s1, s1, _Z47ncclDevFunc_ReduceScatter_RING_LL_Sum_f16_0_0_4v@rel32@hi+12
	s_delay_alu instid0(SALU_CYCLE_1)
	s_swappc_b64 s[30:31], s[0:1]
	s_mov_b32 s0, 0
.LBB2_389:                              ;   in Loop: Header=BB2_92 Depth=1
	s_delay_alu instid0(SALU_CYCLE_1)
	s_and_not1_b32 vcc_lo, exec_lo, s0
	s_cbranch_vccnz .LBB2_391
; %bb.390:                              ;   in Loop: Header=BB2_92 Depth=1
	v_mov_b32_e32 v31, v40
	s_add_u32 s8, s36, 0x1000
	s_addc_u32 s9, s37, 0
	s_mov_b64 s[4:5], s[38:39]
	s_mov_b64 s[10:11], s[34:35]
	s_mov_b32 s12, s41
	s_mov_b32 s13, s40
	;; [unrolled: 1-line block ×3, first 2 shown]
	s_getpc_b64 s[0:1]
	s_add_u32 s0, s0, _Z47ncclDevFunc_ReduceScatter_RING_LL_Sum_f32_0_0_4v@rel32@lo+4
	s_addc_u32 s1, s1, _Z47ncclDevFunc_ReduceScatter_RING_LL_Sum_f32_0_0_4v@rel32@hi+12
	s_delay_alu instid0(SALU_CYCLE_1)
	s_swappc_b64 s[30:31], s[0:1]
.LBB2_391:                              ;   in Loop: Header=BB2_92 Depth=1
	s_mov_b32 s0, 0
.LBB2_392:                              ;   in Loop: Header=BB2_92 Depth=1
	s_delay_alu instid0(SALU_CYCLE_1)
	s_and_not1_b32 vcc_lo, exec_lo, s0
	s_cbranch_vccnz .LBB2_422
; %bb.393:                              ;   in Loop: Header=BB2_92 Depth=1
	s_cmp_gt_u32 s48, 48
	s_mov_b32 s0, -1
	s_cbranch_scc0 .LBB2_410
; %bb.394:                              ;   in Loop: Header=BB2_92 Depth=1
	s_cmp_gt_u32 s48, 51
	s_cbranch_scc0 .LBB2_404
; %bb.395:                              ;   in Loop: Header=BB2_92 Depth=1
	v_cmp_lt_i16_e64 s0, s48, 53
	s_delay_alu instid0(VALU_DEP_1)
	s_and_b32 vcc_lo, exec_lo, s0
	s_mov_b32 s0, -1
	s_cbranch_vccnz .LBB2_401
; %bb.396:                              ;   in Loop: Header=BB2_92 Depth=1
	v_cmp_ne_u16_e64 s0, s48, 53
	s_delay_alu instid0(VALU_DEP_1)
	s_and_b32 vcc_lo, exec_lo, s0
	s_mov_b32 s0, -1
	s_cbranch_vccz .LBB2_398
; %bb.397:                              ;   in Loop: Header=BB2_92 Depth=1
	v_mov_b32_e32 v31, v40
	s_add_u32 s8, s36, 0x1000
	s_addc_u32 s9, s37, 0
	s_mov_b64 s[4:5], s[38:39]
	s_mov_b64 s[10:11], s[34:35]
	s_mov_b32 s12, s41
	s_mov_b32 s13, s40
	;; [unrolled: 1-line block ×3, first 2 shown]
	s_getpc_b64 s[0:1]
	s_add_u32 s0, s0, _Z47ncclDevFunc_ReduceScatter_RING_LL_Sum_u64_0_0_4v@rel32@lo+4
	s_addc_u32 s1, s1, _Z47ncclDevFunc_ReduceScatter_RING_LL_Sum_u64_0_0_4v@rel32@hi+12
	s_delay_alu instid0(SALU_CYCLE_1)
	s_swappc_b64 s[30:31], s[0:1]
	s_mov_b32 s0, 0
.LBB2_398:                              ;   in Loop: Header=BB2_92 Depth=1
	s_delay_alu instid0(SALU_CYCLE_1)
	s_and_not1_b32 vcc_lo, exec_lo, s0
	s_cbranch_vccnz .LBB2_400
; %bb.399:                              ;   in Loop: Header=BB2_92 Depth=1
	v_mov_b32_e32 v31, v40
	s_add_u32 s8, s36, 0x1000
	s_addc_u32 s9, s37, 0
	s_mov_b64 s[4:5], s[38:39]
	s_mov_b64 s[10:11], s[34:35]
	s_mov_b32 s12, s41
	s_mov_b32 s13, s40
	s_mov_b32 s14, s33
	s_getpc_b64 s[0:1]
	s_add_u32 s0, s0, _Z47ncclDevFunc_ReduceScatter_RING_LL_Sum_u32_0_0_4v@rel32@lo+4
	s_addc_u32 s1, s1, _Z47ncclDevFunc_ReduceScatter_RING_LL_Sum_u32_0_0_4v@rel32@hi+12
	s_delay_alu instid0(SALU_CYCLE_1)
	s_swappc_b64 s[30:31], s[0:1]
.LBB2_400:                              ;   in Loop: Header=BB2_92 Depth=1
	s_mov_b32 s0, 0
.LBB2_401:                              ;   in Loop: Header=BB2_92 Depth=1
	s_delay_alu instid0(SALU_CYCLE_1)
	s_and_not1_b32 vcc_lo, exec_lo, s0
	s_cbranch_vccnz .LBB2_403
; %bb.402:                              ;   in Loop: Header=BB2_92 Depth=1
	v_mov_b32_e32 v31, v40
	s_add_u32 s8, s36, 0x1000
	s_addc_u32 s9, s37, 0
	s_mov_b64 s[4:5], s[38:39]
	s_mov_b64 s[10:11], s[34:35]
	s_mov_b32 s12, s41
	s_mov_b32 s13, s40
	;; [unrolled: 1-line block ×3, first 2 shown]
	s_getpc_b64 s[0:1]
	s_add_u32 s0, s0, _Z46ncclDevFunc_ReduceScatter_RING_LL_Sum_u8_0_0_4v@rel32@lo+4
	s_addc_u32 s1, s1, _Z46ncclDevFunc_ReduceScatter_RING_LL_Sum_u8_0_0_4v@rel32@hi+12
	s_delay_alu instid0(SALU_CYCLE_1)
	s_swappc_b64 s[30:31], s[0:1]
.LBB2_403:                              ;   in Loop: Header=BB2_92 Depth=1
	s_mov_b32 s0, 0
.LBB2_404:                              ;   in Loop: Header=BB2_92 Depth=1
	s_delay_alu instid0(SALU_CYCLE_1)
	s_and_b32 vcc_lo, exec_lo, s0
	s_cbranch_vccz .LBB2_409
; %bb.405:                              ;   in Loop: Header=BB2_92 Depth=1
	s_cmp_lg_u32 s48, 49
	s_mov_b32 s0, -1
	s_cbranch_scc0 .LBB2_407
; %bb.406:                              ;   in Loop: Header=BB2_92 Depth=1
	v_mov_b32_e32 v31, v40
	s_add_u32 s8, s36, 0x1000
	s_addc_u32 s9, s37, 0
	s_mov_b64 s[4:5], s[38:39]
	s_mov_b64 s[10:11], s[34:35]
	s_mov_b32 s12, s41
	s_mov_b32 s13, s40
	;; [unrolled: 1-line block ×3, first 2 shown]
	s_getpc_b64 s[0:1]
	s_add_u32 s0, s0, _Z45ncclDevFunc_AllGather_PAT_SIMPLE_Sum_i8_0_0_4v@rel32@lo+4
	s_addc_u32 s1, s1, _Z45ncclDevFunc_AllGather_PAT_SIMPLE_Sum_i8_0_0_4v@rel32@hi+12
	s_delay_alu instid0(SALU_CYCLE_1)
	s_swappc_b64 s[30:31], s[0:1]
	s_mov_b32 s0, 0
.LBB2_407:                              ;   in Loop: Header=BB2_92 Depth=1
	s_delay_alu instid0(SALU_CYCLE_1)
	s_and_not1_b32 vcc_lo, exec_lo, s0
	s_cbranch_vccnz .LBB2_409
; %bb.408:                              ;   in Loop: Header=BB2_92 Depth=1
	v_mov_b32_e32 v31, v40
	s_add_u32 s8, s36, 0x1000
	s_addc_u32 s9, s37, 0
	s_mov_b64 s[4:5], s[38:39]
	s_mov_b64 s[10:11], s[34:35]
	s_mov_b32 s12, s41
	s_mov_b32 s13, s40
	;; [unrolled: 1-line block ×3, first 2 shown]
	s_getpc_b64 s[0:1]
	s_add_u32 s0, s0, _Z41ncclDevFunc_AllGather_PAT_LL_Sum_i8_0_0_4v@rel32@lo+4
	s_addc_u32 s1, s1, _Z41ncclDevFunc_AllGather_PAT_LL_Sum_i8_0_0_4v@rel32@hi+12
	s_delay_alu instid0(SALU_CYCLE_1)
	s_swappc_b64 s[30:31], s[0:1]
.LBB2_409:                              ;   in Loop: Header=BB2_92 Depth=1
	s_mov_b32 s0, 0
.LBB2_410:                              ;   in Loop: Header=BB2_92 Depth=1
	s_delay_alu instid0(SALU_CYCLE_1)
	s_and_not1_b32 vcc_lo, exec_lo, s0
	s_cbranch_vccnz .LBB2_422
; %bb.411:                              ;   in Loop: Header=BB2_92 Depth=1
	s_cmp_gt_u32 s48, 45
	s_mov_b32 s0, -1
	s_cbranch_scc0 .LBB2_417
; %bb.412:                              ;   in Loop: Header=BB2_92 Depth=1
	s_cmp_lg_u32 s48, 46
	s_cbranch_scc0 .LBB2_414
; %bb.413:                              ;   in Loop: Header=BB2_92 Depth=1
	v_mov_b32_e32 v31, v40
	s_add_u32 s8, s36, 0x1000
	s_addc_u32 s9, s37, 0
	s_mov_b64 s[4:5], s[38:39]
	s_mov_b64 s[10:11], s[34:35]
	s_mov_b32 s12, s41
	s_mov_b32 s13, s40
	;; [unrolled: 1-line block ×3, first 2 shown]
	s_getpc_b64 s[0:1]
	s_add_u32 s0, s0, _Z46ncclDevFunc_AllGather_RING_SIMPLE_Sum_i8_0_0_4v@rel32@lo+4
	s_addc_u32 s1, s1, _Z46ncclDevFunc_AllGather_RING_SIMPLE_Sum_i8_0_0_4v@rel32@hi+12
	s_delay_alu instid0(SALU_CYCLE_1)
	s_swappc_b64 s[30:31], s[0:1]
	s_mov_b32 s0, 0
.LBB2_414:                              ;   in Loop: Header=BB2_92 Depth=1
	s_delay_alu instid0(SALU_CYCLE_1)
	s_and_not1_b32 vcc_lo, exec_lo, s0
	s_cbranch_vccnz .LBB2_416
; %bb.415:                              ;   in Loop: Header=BB2_92 Depth=1
	v_mov_b32_e32 v31, v40
	s_add_u32 s8, s36, 0x1000
	s_addc_u32 s9, s37, 0
	s_mov_b64 s[4:5], s[38:39]
	s_mov_b64 s[10:11], s[34:35]
	s_mov_b32 s12, s41
	s_mov_b32 s13, s40
	;; [unrolled: 1-line block ×3, first 2 shown]
	s_getpc_b64 s[0:1]
	s_add_u32 s0, s0, _Z42ncclDevFunc_AllGather_RING_LL_Sum_i8_0_0_4v@rel32@lo+4
	s_addc_u32 s1, s1, _Z42ncclDevFunc_AllGather_RING_LL_Sum_i8_0_0_4v@rel32@hi+12
	s_delay_alu instid0(SALU_CYCLE_1)
	s_swappc_b64 s[30:31], s[0:1]
.LBB2_416:                              ;   in Loop: Header=BB2_92 Depth=1
	s_mov_b32 s0, 0
.LBB2_417:                              ;   in Loop: Header=BB2_92 Depth=1
	s_delay_alu instid0(SALU_CYCLE_1)
	s_and_not1_b32 vcc_lo, exec_lo, s0
	s_cbranch_vccnz .LBB2_422
; %bb.418:                              ;   in Loop: Header=BB2_92 Depth=1
	s_cmp_eq_u32 s48, 45
	s_mov_b32 s0, -1
	s_cbranch_scc1 .LBB2_420
; %bb.419:                              ;   in Loop: Header=BB2_92 Depth=1
	v_mov_b32_e32 v31, v40
	s_add_u32 s8, s36, 0x1000
	s_addc_u32 s9, s37, 0
	s_mov_b64 s[4:5], s[38:39]
	s_mov_b64 s[10:11], s[34:35]
	s_mov_b32 s12, s41
	s_mov_b32 s13, s40
	;; [unrolled: 1-line block ×3, first 2 shown]
	s_getpc_b64 s[0:1]
	s_add_u32 s0, s0, _Z51ncclDevFunc_Reduce_RING_SIMPLE_SumPostDiv_u32_0_0_4v@rel32@lo+4
	s_addc_u32 s1, s1, _Z51ncclDevFunc_Reduce_RING_SIMPLE_SumPostDiv_u32_0_0_4v@rel32@hi+12
	s_delay_alu instid0(SALU_CYCLE_1)
	s_swappc_b64 s[30:31], s[0:1]
	s_mov_b32 s0, 0
.LBB2_420:                              ;   in Loop: Header=BB2_92 Depth=1
	s_delay_alu instid0(SALU_CYCLE_1)
	s_and_not1_b32 vcc_lo, exec_lo, s0
	s_cbranch_vccnz .LBB2_422
; %bb.421:                              ;   in Loop: Header=BB2_92 Depth=1
	v_mov_b32_e32 v31, v40
	s_add_u32 s8, s36, 0x1000
	s_addc_u32 s9, s37, 0
	s_mov_b64 s[4:5], s[38:39]
	s_mov_b64 s[10:11], s[34:35]
	s_mov_b32 s12, s41
	s_mov_b32 s13, s40
	;; [unrolled: 1-line block ×3, first 2 shown]
	s_getpc_b64 s[0:1]
	s_add_u32 s0, s0, _Z51ncclDevFunc_Reduce_RING_SIMPLE_SumPostDiv_u64_0_0_4v@rel32@lo+4
	s_addc_u32 s1, s1, _Z51ncclDevFunc_Reduce_RING_SIMPLE_SumPostDiv_u64_0_0_4v@rel32@hi+12
	s_delay_alu instid0(SALU_CYCLE_1)
	s_swappc_b64 s[30:31], s[0:1]
.LBB2_422:                              ;   in Loop: Header=BB2_92 Depth=1
	s_mov_b32 s0, 0
.LBB2_423:                              ;   in Loop: Header=BB2_92 Depth=1
	s_delay_alu instid0(SALU_CYCLE_1)
	s_and_not1_b32 vcc_lo, exec_lo, s0
	s_cbranch_vccnz .LBB2_578
; %bb.424:                              ;   in Loop: Header=BB2_92 Depth=1
	s_cmp_gt_u32 s48, 21
	s_mov_b32 s0, -1
	s_cbranch_scc0 .LBB2_503
; %bb.425:                              ;   in Loop: Header=BB2_92 Depth=1
	s_cmp_gt_u32 s48, 32
	s_cbranch_scc0 .LBB2_464
; %bb.426:                              ;   in Loop: Header=BB2_92 Depth=1
	s_cmp_gt_u32 s48, 37
	;; [unrolled: 3-line block ×3, first 2 shown]
	s_cbranch_scc0 .LBB2_437
; %bb.428:                              ;   in Loop: Header=BB2_92 Depth=1
	v_cmp_lt_i16_e64 s0, s48, 42
	s_delay_alu instid0(VALU_DEP_1)
	s_and_b32 vcc_lo, exec_lo, s0
	s_mov_b32 s0, -1
	s_cbranch_vccnz .LBB2_434
; %bb.429:                              ;   in Loop: Header=BB2_92 Depth=1
	v_cmp_ne_u16_e64 s0, s48, 42
	s_delay_alu instid0(VALU_DEP_1)
	s_and_b32 vcc_lo, exec_lo, s0
	s_mov_b32 s0, -1
	s_cbranch_vccz .LBB2_431
; %bb.430:                              ;   in Loop: Header=BB2_92 Depth=1
	v_mov_b32_e32 v31, v40
	s_add_u32 s8, s36, 0x1000
	s_addc_u32 s9, s37, 0
	s_mov_b64 s[4:5], s[38:39]
	s_mov_b64 s[10:11], s[34:35]
	s_mov_b32 s12, s41
	s_mov_b32 s13, s40
	;; [unrolled: 1-line block ×3, first 2 shown]
	s_getpc_b64 s[0:1]
	s_add_u32 s0, s0, _Z50ncclDevFunc_Reduce_RING_SIMPLE_SumPostDiv_u8_0_0_4v@rel32@lo+4
	s_addc_u32 s1, s1, _Z50ncclDevFunc_Reduce_RING_SIMPLE_SumPostDiv_u8_0_0_4v@rel32@hi+12
	s_delay_alu instid0(SALU_CYCLE_1)
	s_swappc_b64 s[30:31], s[0:1]
	s_mov_b32 s0, 0
.LBB2_431:                              ;   in Loop: Header=BB2_92 Depth=1
	s_delay_alu instid0(SALU_CYCLE_1)
	s_and_not1_b32 vcc_lo, exec_lo, s0
	s_cbranch_vccnz .LBB2_433
; %bb.432:                              ;   in Loop: Header=BB2_92 Depth=1
	v_mov_b32_e32 v31, v40
	s_add_u32 s8, s36, 0x1000
	s_addc_u32 s9, s37, 0
	s_mov_b64 s[4:5], s[38:39]
	s_mov_b64 s[10:11], s[34:35]
	s_mov_b32 s12, s41
	s_mov_b32 s13, s40
	;; [unrolled: 1-line block ×3, first 2 shown]
	s_getpc_b64 s[0:1]
	s_add_u32 s0, s0, _Z53ncclDevFunc_Reduce_RING_SIMPLE_PreMulSum_f8e5m2_0_0_4v@rel32@lo+4
	s_addc_u32 s1, s1, _Z53ncclDevFunc_Reduce_RING_SIMPLE_PreMulSum_f8e5m2_0_0_4v@rel32@hi+12
	s_delay_alu instid0(SALU_CYCLE_1)
	s_swappc_b64 s[30:31], s[0:1]
.LBB2_433:                              ;   in Loop: Header=BB2_92 Depth=1
	s_mov_b32 s0, 0
.LBB2_434:                              ;   in Loop: Header=BB2_92 Depth=1
	s_delay_alu instid0(SALU_CYCLE_1)
	s_and_not1_b32 vcc_lo, exec_lo, s0
	s_cbranch_vccnz .LBB2_436
; %bb.435:                              ;   in Loop: Header=BB2_92 Depth=1
	v_mov_b32_e32 v31, v40
	s_add_u32 s8, s36, 0x1000
	s_addc_u32 s9, s37, 0
	s_mov_b64 s[4:5], s[38:39]
	s_mov_b64 s[10:11], s[34:35]
	s_mov_b32 s12, s41
	s_mov_b32 s13, s40
	;; [unrolled: 1-line block ×3, first 2 shown]
	s_getpc_b64 s[0:1]
	s_add_u32 s0, s0, _Z53ncclDevFunc_Reduce_RING_SIMPLE_PreMulSum_f8e4m3_0_0_4v@rel32@lo+4
	s_addc_u32 s1, s1, _Z53ncclDevFunc_Reduce_RING_SIMPLE_PreMulSum_f8e4m3_0_0_4v@rel32@hi+12
	s_delay_alu instid0(SALU_CYCLE_1)
	s_swappc_b64 s[30:31], s[0:1]
.LBB2_436:                              ;   in Loop: Header=BB2_92 Depth=1
	s_mov_b32 s0, 0
.LBB2_437:                              ;   in Loop: Header=BB2_92 Depth=1
	s_delay_alu instid0(SALU_CYCLE_1)
	s_and_b32 vcc_lo, exec_lo, s0
	s_cbranch_vccz .LBB2_446
; %bb.438:                              ;   in Loop: Header=BB2_92 Depth=1
	v_cmp_lt_i16_e64 s0, s48, 39
	s_delay_alu instid0(VALU_DEP_1)
	s_and_b32 vcc_lo, exec_lo, s0
	s_mov_b32 s0, -1
	s_cbranch_vccnz .LBB2_444
; %bb.439:                              ;   in Loop: Header=BB2_92 Depth=1
	v_cmp_ne_u16_e64 s0, s48, 39
	s_delay_alu instid0(VALU_DEP_1)
	s_and_b32 vcc_lo, exec_lo, s0
	s_mov_b32 s0, -1
	s_cbranch_vccz .LBB2_441
; %bb.440:                              ;   in Loop: Header=BB2_92 Depth=1
	v_mov_b32_e32 v31, v40
	s_add_u32 s8, s36, 0x1000
	s_addc_u32 s9, s37, 0
	s_mov_b64 s[4:5], s[38:39]
	s_mov_b64 s[10:11], s[34:35]
	s_mov_b32 s12, s41
	s_mov_b32 s13, s40
	;; [unrolled: 1-line block ×3, first 2 shown]
	s_getpc_b64 s[0:1]
	s_add_u32 s0, s0, _Z51ncclDevFunc_Reduce_RING_SIMPLE_PreMulSum_bf16_0_1_4v@rel32@lo+4
	s_addc_u32 s1, s1, _Z51ncclDevFunc_Reduce_RING_SIMPLE_PreMulSum_bf16_0_1_4v@rel32@hi+12
	s_delay_alu instid0(SALU_CYCLE_1)
	s_swappc_b64 s[30:31], s[0:1]
	s_mov_b32 s0, 0
.LBB2_441:                              ;   in Loop: Header=BB2_92 Depth=1
	s_delay_alu instid0(SALU_CYCLE_1)
	s_and_not1_b32 vcc_lo, exec_lo, s0
	s_cbranch_vccnz .LBB2_443
; %bb.442:                              ;   in Loop: Header=BB2_92 Depth=1
	v_mov_b32_e32 v31, v40
	s_add_u32 s8, s36, 0x1000
	s_addc_u32 s9, s37, 0
	s_mov_b64 s[4:5], s[38:39]
	s_mov_b64 s[10:11], s[34:35]
	s_mov_b32 s12, s41
	s_mov_b32 s13, s40
	;; [unrolled: 1-line block ×3, first 2 shown]
	s_getpc_b64 s[0:1]
	s_add_u32 s0, s0, _Z51ncclDevFunc_Reduce_RING_SIMPLE_PreMulSum_bf16_0_0_4v@rel32@lo+4
	s_addc_u32 s1, s1, _Z51ncclDevFunc_Reduce_RING_SIMPLE_PreMulSum_bf16_0_0_4v@rel32@hi+12
	s_delay_alu instid0(SALU_CYCLE_1)
	s_swappc_b64 s[30:31], s[0:1]
.LBB2_443:                              ;   in Loop: Header=BB2_92 Depth=1
	s_mov_b32 s0, 0
.LBB2_444:                              ;   in Loop: Header=BB2_92 Depth=1
	s_delay_alu instid0(SALU_CYCLE_1)
	s_and_not1_b32 vcc_lo, exec_lo, s0
	s_cbranch_vccnz .LBB2_446
; %bb.445:                              ;   in Loop: Header=BB2_92 Depth=1
	v_mov_b32_e32 v31, v40
	s_add_u32 s8, s36, 0x1000
	s_addc_u32 s9, s37, 0
	s_mov_b64 s[4:5], s[38:39]
	s_mov_b64 s[10:11], s[34:35]
	s_mov_b32 s12, s41
	s_mov_b32 s13, s40
	s_mov_b32 s14, s33
	s_getpc_b64 s[0:1]
	s_add_u32 s0, s0, _Z50ncclDevFunc_Reduce_RING_SIMPLE_PreMulSum_f64_0_0_4v@rel32@lo+4
	s_addc_u32 s1, s1, _Z50ncclDevFunc_Reduce_RING_SIMPLE_PreMulSum_f64_0_0_4v@rel32@hi+12
	s_delay_alu instid0(SALU_CYCLE_1)
	s_swappc_b64 s[30:31], s[0:1]
.LBB2_446:                              ;   in Loop: Header=BB2_92 Depth=1
	s_mov_b32 s0, 0
.LBB2_447:                              ;   in Loop: Header=BB2_92 Depth=1
	s_delay_alu instid0(SALU_CYCLE_1)
	s_and_not1_b32 vcc_lo, exec_lo, s0
	s_cbranch_vccnz .LBB2_463
; %bb.448:                              ;   in Loop: Header=BB2_92 Depth=1
	s_cmp_gt_u32 s48, 34
	s_mov_b32 s0, -1
	s_cbranch_scc0 .LBB2_458
; %bb.449:                              ;   in Loop: Header=BB2_92 Depth=1
	v_cmp_lt_i16_e64 s0, s48, 36
	s_delay_alu instid0(VALU_DEP_1)
	s_and_b32 vcc_lo, exec_lo, s0
	s_mov_b32 s0, -1
	s_cbranch_vccnz .LBB2_455
; %bb.450:                              ;   in Loop: Header=BB2_92 Depth=1
	v_cmp_ne_u16_e64 s0, s48, 36
	s_delay_alu instid0(VALU_DEP_1)
	s_and_b32 vcc_lo, exec_lo, s0
	s_mov_b32 s0, -1
	s_cbranch_vccz .LBB2_452
; %bb.451:                              ;   in Loop: Header=BB2_92 Depth=1
	v_mov_b32_e32 v31, v40
	s_add_u32 s8, s36, 0x1000
	s_addc_u32 s9, s37, 0
	s_mov_b64 s[4:5], s[38:39]
	s_mov_b64 s[10:11], s[34:35]
	s_mov_b32 s12, s41
	s_mov_b32 s13, s40
	;; [unrolled: 1-line block ×3, first 2 shown]
	s_getpc_b64 s[0:1]
	s_add_u32 s0, s0, _Z50ncclDevFunc_Reduce_RING_SIMPLE_PreMulSum_f32_0_0_4v@rel32@lo+4
	s_addc_u32 s1, s1, _Z50ncclDevFunc_Reduce_RING_SIMPLE_PreMulSum_f32_0_0_4v@rel32@hi+12
	s_delay_alu instid0(SALU_CYCLE_1)
	s_swappc_b64 s[30:31], s[0:1]
	s_mov_b32 s0, 0
.LBB2_452:                              ;   in Loop: Header=BB2_92 Depth=1
	s_delay_alu instid0(SALU_CYCLE_1)
	s_and_not1_b32 vcc_lo, exec_lo, s0
	s_cbranch_vccnz .LBB2_454
; %bb.453:                              ;   in Loop: Header=BB2_92 Depth=1
	v_mov_b32_e32 v31, v40
	s_add_u32 s8, s36, 0x1000
	s_addc_u32 s9, s37, 0
	s_mov_b64 s[4:5], s[38:39]
	s_mov_b64 s[10:11], s[34:35]
	s_mov_b32 s12, s41
	s_mov_b32 s13, s40
	;; [unrolled: 1-line block ×3, first 2 shown]
	s_getpc_b64 s[0:1]
	s_add_u32 s0, s0, _Z50ncclDevFunc_Reduce_RING_SIMPLE_PreMulSum_f16_0_0_4v@rel32@lo+4
	s_addc_u32 s1, s1, _Z50ncclDevFunc_Reduce_RING_SIMPLE_PreMulSum_f16_0_0_4v@rel32@hi+12
	s_delay_alu instid0(SALU_CYCLE_1)
	s_swappc_b64 s[30:31], s[0:1]
.LBB2_454:                              ;   in Loop: Header=BB2_92 Depth=1
	s_mov_b32 s0, 0
.LBB2_455:                              ;   in Loop: Header=BB2_92 Depth=1
	s_delay_alu instid0(SALU_CYCLE_1)
	s_and_not1_b32 vcc_lo, exec_lo, s0
	s_cbranch_vccnz .LBB2_457
; %bb.456:                              ;   in Loop: Header=BB2_92 Depth=1
	v_mov_b32_e32 v31, v40
	s_add_u32 s8, s36, 0x1000
	s_addc_u32 s9, s37, 0
	s_mov_b64 s[4:5], s[38:39]
	s_mov_b64 s[10:11], s[34:35]
	s_mov_b32 s12, s41
	s_mov_b32 s13, s40
	;; [unrolled: 1-line block ×3, first 2 shown]
	s_getpc_b64 s[0:1]
	s_add_u32 s0, s0, _Z50ncclDevFunc_Reduce_RING_SIMPLE_PreMulSum_u64_0_0_4v@rel32@lo+4
	s_addc_u32 s1, s1, _Z50ncclDevFunc_Reduce_RING_SIMPLE_PreMulSum_u64_0_0_4v@rel32@hi+12
	s_delay_alu instid0(SALU_CYCLE_1)
	s_swappc_b64 s[30:31], s[0:1]
.LBB2_457:                              ;   in Loop: Header=BB2_92 Depth=1
	s_mov_b32 s0, 0
.LBB2_458:                              ;   in Loop: Header=BB2_92 Depth=1
	s_delay_alu instid0(SALU_CYCLE_1)
	s_and_b32 vcc_lo, exec_lo, s0
	s_cbranch_vccz .LBB2_463
; %bb.459:                              ;   in Loop: Header=BB2_92 Depth=1
	s_cmp_eq_u32 s48, 34
	s_mov_b32 s0, -1
	s_cbranch_scc1 .LBB2_461
; %bb.460:                              ;   in Loop: Header=BB2_92 Depth=1
	v_mov_b32_e32 v31, v40
	s_add_u32 s8, s36, 0x1000
	s_addc_u32 s9, s37, 0
	s_mov_b64 s[4:5], s[38:39]
	s_mov_b64 s[10:11], s[34:35]
	s_mov_b32 s12, s41
	s_mov_b32 s13, s40
	;; [unrolled: 1-line block ×3, first 2 shown]
	s_getpc_b64 s[0:1]
	s_add_u32 s0, s0, _Z49ncclDevFunc_Reduce_RING_SIMPLE_PreMulSum_u8_0_0_4v@rel32@lo+4
	s_addc_u32 s1, s1, _Z49ncclDevFunc_Reduce_RING_SIMPLE_PreMulSum_u8_0_0_4v@rel32@hi+12
	s_delay_alu instid0(SALU_CYCLE_1)
	s_swappc_b64 s[30:31], s[0:1]
	s_mov_b32 s0, 0
.LBB2_461:                              ;   in Loop: Header=BB2_92 Depth=1
	s_delay_alu instid0(SALU_CYCLE_1)
	s_and_not1_b32 vcc_lo, exec_lo, s0
	s_cbranch_vccnz .LBB2_463
; %bb.462:                              ;   in Loop: Header=BB2_92 Depth=1
	v_mov_b32_e32 v31, v40
	s_add_u32 s8, s36, 0x1000
	s_addc_u32 s9, s37, 0
	s_mov_b64 s[4:5], s[38:39]
	s_mov_b64 s[10:11], s[34:35]
	s_mov_b32 s12, s41
	s_mov_b32 s13, s40
	;; [unrolled: 1-line block ×3, first 2 shown]
	s_getpc_b64 s[0:1]
	s_add_u32 s0, s0, _Z50ncclDevFunc_Reduce_RING_SIMPLE_PreMulSum_u32_0_0_4v@rel32@lo+4
	s_addc_u32 s1, s1, _Z50ncclDevFunc_Reduce_RING_SIMPLE_PreMulSum_u32_0_0_4v@rel32@hi+12
	s_delay_alu instid0(SALU_CYCLE_1)
	s_swappc_b64 s[30:31], s[0:1]
.LBB2_463:                              ;   in Loop: Header=BB2_92 Depth=1
	s_mov_b32 s0, 0
.LBB2_464:                              ;   in Loop: Header=BB2_92 Depth=1
	s_delay_alu instid0(SALU_CYCLE_1)
	s_and_not1_b32 vcc_lo, exec_lo, s0
	s_cbranch_vccnz .LBB2_502
; %bb.465:                              ;   in Loop: Header=BB2_92 Depth=1
	s_cmp_gt_u32 s48, 26
	s_mov_b32 s0, -1
	s_cbranch_scc0 .LBB2_486
; %bb.466:                              ;   in Loop: Header=BB2_92 Depth=1
	s_cmp_gt_u32 s48, 29
	s_cbranch_scc0 .LBB2_476
; %bb.467:                              ;   in Loop: Header=BB2_92 Depth=1
	v_cmp_lt_i16_e64 s0, s48, 31
	s_delay_alu instid0(VALU_DEP_1)
	s_and_b32 vcc_lo, exec_lo, s0
	s_mov_b32 s0, -1
	s_cbranch_vccnz .LBB2_473
; %bb.468:                              ;   in Loop: Header=BB2_92 Depth=1
	v_cmp_ne_u16_e64 s0, s48, 31
	s_delay_alu instid0(VALU_DEP_1)
	s_and_b32 vcc_lo, exec_lo, s0
	s_mov_b32 s0, -1
	s_cbranch_vccz .LBB2_470
; %bb.469:                              ;   in Loop: Header=BB2_92 Depth=1
	v_mov_b32_e32 v31, v40
	s_add_u32 s8, s36, 0x1000
	s_addc_u32 s9, s37, 0
	s_mov_b64 s[4:5], s[38:39]
	s_mov_b64 s[10:11], s[34:35]
	s_mov_b32 s12, s41
	s_mov_b32 s13, s40
	;; [unrolled: 1-line block ×3, first 2 shown]
	s_getpc_b64 s[0:1]
	s_add_u32 s0, s0, _Z50ncclDevFunc_Reduce_RING_SIMPLE_MinMax_f8e5m2_0_0_4v@rel32@lo+4
	s_addc_u32 s1, s1, _Z50ncclDevFunc_Reduce_RING_SIMPLE_MinMax_f8e5m2_0_0_4v@rel32@hi+12
	s_delay_alu instid0(SALU_CYCLE_1)
	s_swappc_b64 s[30:31], s[0:1]
	s_mov_b32 s0, 0
.LBB2_470:                              ;   in Loop: Header=BB2_92 Depth=1
	s_delay_alu instid0(SALU_CYCLE_1)
	s_and_not1_b32 vcc_lo, exec_lo, s0
	s_cbranch_vccnz .LBB2_472
; %bb.471:                              ;   in Loop: Header=BB2_92 Depth=1
	v_mov_b32_e32 v31, v40
	s_add_u32 s8, s36, 0x1000
	s_addc_u32 s9, s37, 0
	s_mov_b64 s[4:5], s[38:39]
	s_mov_b64 s[10:11], s[34:35]
	s_mov_b32 s12, s41
	s_mov_b32 s13, s40
	;; [unrolled: 1-line block ×3, first 2 shown]
	s_getpc_b64 s[0:1]
	s_add_u32 s0, s0, _Z50ncclDevFunc_Reduce_RING_SIMPLE_MinMax_f8e4m3_0_0_4v@rel32@lo+4
	s_addc_u32 s1, s1, _Z50ncclDevFunc_Reduce_RING_SIMPLE_MinMax_f8e4m3_0_0_4v@rel32@hi+12
	s_delay_alu instid0(SALU_CYCLE_1)
	s_swappc_b64 s[30:31], s[0:1]
.LBB2_472:                              ;   in Loop: Header=BB2_92 Depth=1
	s_mov_b32 s0, 0
.LBB2_473:                              ;   in Loop: Header=BB2_92 Depth=1
	s_delay_alu instid0(SALU_CYCLE_1)
	s_and_not1_b32 vcc_lo, exec_lo, s0
	s_cbranch_vccnz .LBB2_475
; %bb.474:                              ;   in Loop: Header=BB2_92 Depth=1
	v_mov_b32_e32 v31, v40
	s_add_u32 s8, s36, 0x1000
	s_addc_u32 s9, s37, 0
	s_mov_b64 s[4:5], s[38:39]
	s_mov_b64 s[10:11], s[34:35]
	s_mov_b32 s12, s41
	s_mov_b32 s13, s40
	;; [unrolled: 1-line block ×3, first 2 shown]
	s_getpc_b64 s[0:1]
	s_add_u32 s0, s0, _Z48ncclDevFunc_Reduce_RING_SIMPLE_MinMax_bf16_0_1_4v@rel32@lo+4
	s_addc_u32 s1, s1, _Z48ncclDevFunc_Reduce_RING_SIMPLE_MinMax_bf16_0_1_4v@rel32@hi+12
	s_delay_alu instid0(SALU_CYCLE_1)
	s_swappc_b64 s[30:31], s[0:1]
.LBB2_475:                              ;   in Loop: Header=BB2_92 Depth=1
	s_mov_b32 s0, 0
.LBB2_476:                              ;   in Loop: Header=BB2_92 Depth=1
	s_delay_alu instid0(SALU_CYCLE_1)
	s_and_b32 vcc_lo, exec_lo, s0
	s_cbranch_vccz .LBB2_485
; %bb.477:                              ;   in Loop: Header=BB2_92 Depth=1
	v_cmp_lt_i16_e64 s0, s48, 28
	s_delay_alu instid0(VALU_DEP_1)
	s_and_b32 vcc_lo, exec_lo, s0
	s_mov_b32 s0, -1
	s_cbranch_vccnz .LBB2_483
; %bb.478:                              ;   in Loop: Header=BB2_92 Depth=1
	v_cmp_ne_u16_e64 s0, s48, 28
	s_delay_alu instid0(VALU_DEP_1)
	s_and_b32 vcc_lo, exec_lo, s0
	s_mov_b32 s0, -1
	s_cbranch_vccz .LBB2_480
; %bb.479:                              ;   in Loop: Header=BB2_92 Depth=1
	v_mov_b32_e32 v31, v40
	s_add_u32 s8, s36, 0x1000
	s_addc_u32 s9, s37, 0
	s_mov_b64 s[4:5], s[38:39]
	s_mov_b64 s[10:11], s[34:35]
	s_mov_b32 s12, s41
	s_mov_b32 s13, s40
	;; [unrolled: 1-line block ×3, first 2 shown]
	s_getpc_b64 s[0:1]
	s_add_u32 s0, s0, _Z48ncclDevFunc_Reduce_RING_SIMPLE_MinMax_bf16_0_0_4v@rel32@lo+4
	s_addc_u32 s1, s1, _Z48ncclDevFunc_Reduce_RING_SIMPLE_MinMax_bf16_0_0_4v@rel32@hi+12
	s_delay_alu instid0(SALU_CYCLE_1)
	s_swappc_b64 s[30:31], s[0:1]
	s_mov_b32 s0, 0
.LBB2_480:                              ;   in Loop: Header=BB2_92 Depth=1
	s_delay_alu instid0(SALU_CYCLE_1)
	s_and_not1_b32 vcc_lo, exec_lo, s0
	s_cbranch_vccnz .LBB2_482
; %bb.481:                              ;   in Loop: Header=BB2_92 Depth=1
	v_mov_b32_e32 v31, v40
	s_add_u32 s8, s36, 0x1000
	s_addc_u32 s9, s37, 0
	s_mov_b64 s[4:5], s[38:39]
	s_mov_b64 s[10:11], s[34:35]
	s_mov_b32 s12, s41
	s_mov_b32 s13, s40
	;; [unrolled: 1-line block ×3, first 2 shown]
	s_getpc_b64 s[0:1]
	s_add_u32 s0, s0, _Z47ncclDevFunc_Reduce_RING_SIMPLE_MinMax_f64_0_0_4v@rel32@lo+4
	s_addc_u32 s1, s1, _Z47ncclDevFunc_Reduce_RING_SIMPLE_MinMax_f64_0_0_4v@rel32@hi+12
	s_delay_alu instid0(SALU_CYCLE_1)
	s_swappc_b64 s[30:31], s[0:1]
.LBB2_482:                              ;   in Loop: Header=BB2_92 Depth=1
	s_mov_b32 s0, 0
.LBB2_483:                              ;   in Loop: Header=BB2_92 Depth=1
	s_delay_alu instid0(SALU_CYCLE_1)
	s_and_not1_b32 vcc_lo, exec_lo, s0
	s_cbranch_vccnz .LBB2_485
; %bb.484:                              ;   in Loop: Header=BB2_92 Depth=1
	v_mov_b32_e32 v31, v40
	s_add_u32 s8, s36, 0x1000
	s_addc_u32 s9, s37, 0
	s_mov_b64 s[4:5], s[38:39]
	s_mov_b64 s[10:11], s[34:35]
	s_mov_b32 s12, s41
	s_mov_b32 s13, s40
	;; [unrolled: 1-line block ×3, first 2 shown]
	s_getpc_b64 s[0:1]
	s_add_u32 s0, s0, _Z47ncclDevFunc_Reduce_RING_SIMPLE_MinMax_f32_0_0_4v@rel32@lo+4
	s_addc_u32 s1, s1, _Z47ncclDevFunc_Reduce_RING_SIMPLE_MinMax_f32_0_0_4v@rel32@hi+12
	s_delay_alu instid0(SALU_CYCLE_1)
	s_swappc_b64 s[30:31], s[0:1]
.LBB2_485:                              ;   in Loop: Header=BB2_92 Depth=1
	s_mov_b32 s0, 0
.LBB2_486:                              ;   in Loop: Header=BB2_92 Depth=1
	s_delay_alu instid0(SALU_CYCLE_1)
	s_and_not1_b32 vcc_lo, exec_lo, s0
	s_cbranch_vccnz .LBB2_502
; %bb.487:                              ;   in Loop: Header=BB2_92 Depth=1
	s_cmp_gt_u32 s48, 23
	s_mov_b32 s0, -1
	s_cbranch_scc0 .LBB2_497
; %bb.488:                              ;   in Loop: Header=BB2_92 Depth=1
	v_cmp_lt_i16_e64 s0, s48, 25
	s_delay_alu instid0(VALU_DEP_1)
	s_and_b32 vcc_lo, exec_lo, s0
	s_mov_b32 s0, -1
	s_cbranch_vccnz .LBB2_494
; %bb.489:                              ;   in Loop: Header=BB2_92 Depth=1
	v_cmp_ne_u16_e64 s0, s48, 25
	s_delay_alu instid0(VALU_DEP_1)
	s_and_b32 vcc_lo, exec_lo, s0
	s_mov_b32 s0, -1
	s_cbranch_vccz .LBB2_491
; %bb.490:                              ;   in Loop: Header=BB2_92 Depth=1
	v_mov_b32_e32 v31, v40
	s_add_u32 s8, s36, 0x1000
	s_addc_u32 s9, s37, 0
	s_mov_b64 s[4:5], s[38:39]
	s_mov_b64 s[10:11], s[34:35]
	s_mov_b32 s12, s41
	s_mov_b32 s13, s40
	;; [unrolled: 1-line block ×3, first 2 shown]
	s_getpc_b64 s[0:1]
	s_add_u32 s0, s0, _Z47ncclDevFunc_Reduce_RING_SIMPLE_MinMax_f16_0_0_4v@rel32@lo+4
	s_addc_u32 s1, s1, _Z47ncclDevFunc_Reduce_RING_SIMPLE_MinMax_f16_0_0_4v@rel32@hi+12
	s_delay_alu instid0(SALU_CYCLE_1)
	s_swappc_b64 s[30:31], s[0:1]
	s_mov_b32 s0, 0
.LBB2_491:                              ;   in Loop: Header=BB2_92 Depth=1
	s_delay_alu instid0(SALU_CYCLE_1)
	s_and_not1_b32 vcc_lo, exec_lo, s0
	s_cbranch_vccnz .LBB2_493
; %bb.492:                              ;   in Loop: Header=BB2_92 Depth=1
	v_mov_b32_e32 v31, v40
	s_add_u32 s8, s36, 0x1000
	s_addc_u32 s9, s37, 0
	s_mov_b64 s[4:5], s[38:39]
	s_mov_b64 s[10:11], s[34:35]
	s_mov_b32 s12, s41
	s_mov_b32 s13, s40
	;; [unrolled: 1-line block ×3, first 2 shown]
	s_getpc_b64 s[0:1]
	s_add_u32 s0, s0, _Z47ncclDevFunc_Reduce_RING_SIMPLE_MinMax_u64_0_0_4v@rel32@lo+4
	s_addc_u32 s1, s1, _Z47ncclDevFunc_Reduce_RING_SIMPLE_MinMax_u64_0_0_4v@rel32@hi+12
	s_delay_alu instid0(SALU_CYCLE_1)
	s_swappc_b64 s[30:31], s[0:1]
.LBB2_493:                              ;   in Loop: Header=BB2_92 Depth=1
	s_mov_b32 s0, 0
.LBB2_494:                              ;   in Loop: Header=BB2_92 Depth=1
	s_delay_alu instid0(SALU_CYCLE_1)
	s_and_not1_b32 vcc_lo, exec_lo, s0
	s_cbranch_vccnz .LBB2_496
; %bb.495:                              ;   in Loop: Header=BB2_92 Depth=1
	v_mov_b32_e32 v31, v40
	s_add_u32 s8, s36, 0x1000
	s_addc_u32 s9, s37, 0
	s_mov_b64 s[4:5], s[38:39]
	s_mov_b64 s[10:11], s[34:35]
	s_mov_b32 s12, s41
	s_mov_b32 s13, s40
	;; [unrolled: 1-line block ×3, first 2 shown]
	s_getpc_b64 s[0:1]
	s_add_u32 s0, s0, _Z47ncclDevFunc_Reduce_RING_SIMPLE_MinMax_u32_0_0_4v@rel32@lo+4
	s_addc_u32 s1, s1, _Z47ncclDevFunc_Reduce_RING_SIMPLE_MinMax_u32_0_0_4v@rel32@hi+12
	s_delay_alu instid0(SALU_CYCLE_1)
	s_swappc_b64 s[30:31], s[0:1]
.LBB2_496:                              ;   in Loop: Header=BB2_92 Depth=1
	s_mov_b32 s0, 0
.LBB2_497:                              ;   in Loop: Header=BB2_92 Depth=1
	s_delay_alu instid0(SALU_CYCLE_1)
	s_and_b32 vcc_lo, exec_lo, s0
	s_cbranch_vccz .LBB2_502
; %bb.498:                              ;   in Loop: Header=BB2_92 Depth=1
	s_cmp_eq_u32 s48, 23
	s_mov_b32 s0, -1
	s_cbranch_scc1 .LBB2_500
; %bb.499:                              ;   in Loop: Header=BB2_92 Depth=1
	v_mov_b32_e32 v31, v40
	s_add_u32 s8, s36, 0x1000
	s_addc_u32 s9, s37, 0
	s_mov_b64 s[4:5], s[38:39]
	s_mov_b64 s[10:11], s[34:35]
	s_mov_b32 s12, s41
	s_mov_b32 s13, s40
	;; [unrolled: 1-line block ×3, first 2 shown]
	s_getpc_b64 s[0:1]
	s_add_u32 s0, s0, _Z48ncclDevFunc_Reduce_RING_SIMPLE_Prod_f8e5m2_0_0_4v@rel32@lo+4
	s_addc_u32 s1, s1, _Z48ncclDevFunc_Reduce_RING_SIMPLE_Prod_f8e5m2_0_0_4v@rel32@hi+12
	s_delay_alu instid0(SALU_CYCLE_1)
	s_swappc_b64 s[30:31], s[0:1]
	s_mov_b32 s0, 0
.LBB2_500:                              ;   in Loop: Header=BB2_92 Depth=1
	s_delay_alu instid0(SALU_CYCLE_1)
	s_and_not1_b32 vcc_lo, exec_lo, s0
	s_cbranch_vccnz .LBB2_502
; %bb.501:                              ;   in Loop: Header=BB2_92 Depth=1
	v_mov_b32_e32 v31, v40
	s_add_u32 s8, s36, 0x1000
	s_addc_u32 s9, s37, 0
	s_mov_b64 s[4:5], s[38:39]
	s_mov_b64 s[10:11], s[34:35]
	s_mov_b32 s12, s41
	s_mov_b32 s13, s40
	;; [unrolled: 1-line block ×3, first 2 shown]
	s_getpc_b64 s[0:1]
	s_add_u32 s0, s0, _Z46ncclDevFunc_Reduce_RING_SIMPLE_MinMax_u8_0_0_4v@rel32@lo+4
	s_addc_u32 s1, s1, _Z46ncclDevFunc_Reduce_RING_SIMPLE_MinMax_u8_0_0_4v@rel32@hi+12
	s_delay_alu instid0(SALU_CYCLE_1)
	s_swappc_b64 s[30:31], s[0:1]
.LBB2_502:                              ;   in Loop: Header=BB2_92 Depth=1
	s_mov_b32 s0, 0
.LBB2_503:                              ;   in Loop: Header=BB2_92 Depth=1
	s_delay_alu instid0(SALU_CYCLE_1)
	s_and_not1_b32 vcc_lo, exec_lo, s0
	s_cbranch_vccnz .LBB2_578
; %bb.504:                              ;   in Loop: Header=BB2_92 Depth=1
	s_cmp_gt_u32 s48, 10
	s_mov_b32 s0, -1
	s_cbranch_scc0 .LBB2_543
; %bb.505:                              ;   in Loop: Header=BB2_92 Depth=1
	s_cmp_gt_u32 s48, 15
	s_cbranch_scc0 .LBB2_526
; %bb.506:                              ;   in Loop: Header=BB2_92 Depth=1
	s_cmp_gt_u32 s48, 18
	s_cbranch_scc0 .LBB2_516
; %bb.507:                              ;   in Loop: Header=BB2_92 Depth=1
	v_cmp_lt_i16_e64 s0, s48, 20
	s_delay_alu instid0(VALU_DEP_1)
	s_and_b32 vcc_lo, exec_lo, s0
	s_mov_b32 s0, -1
	s_cbranch_vccnz .LBB2_513
; %bb.508:                              ;   in Loop: Header=BB2_92 Depth=1
	v_cmp_ne_u16_e64 s0, s48, 20
	s_delay_alu instid0(VALU_DEP_1)
	s_and_b32 vcc_lo, exec_lo, s0
	s_mov_b32 s0, -1
	s_cbranch_vccz .LBB2_510
; %bb.509:                              ;   in Loop: Header=BB2_92 Depth=1
	v_mov_b32_e32 v31, v40
	s_add_u32 s8, s36, 0x1000
	s_addc_u32 s9, s37, 0
	s_mov_b64 s[4:5], s[38:39]
	s_mov_b64 s[10:11], s[34:35]
	s_mov_b32 s12, s41
	s_mov_b32 s13, s40
	;; [unrolled: 1-line block ×3, first 2 shown]
	s_getpc_b64 s[0:1]
	s_add_u32 s0, s0, _Z48ncclDevFunc_Reduce_RING_SIMPLE_Prod_f8e4m3_0_0_4v@rel32@lo+4
	s_addc_u32 s1, s1, _Z48ncclDevFunc_Reduce_RING_SIMPLE_Prod_f8e4m3_0_0_4v@rel32@hi+12
	s_delay_alu instid0(SALU_CYCLE_1)
	s_swappc_b64 s[30:31], s[0:1]
	s_mov_b32 s0, 0
.LBB2_510:                              ;   in Loop: Header=BB2_92 Depth=1
	s_delay_alu instid0(SALU_CYCLE_1)
	s_and_not1_b32 vcc_lo, exec_lo, s0
	s_cbranch_vccnz .LBB2_512
; %bb.511:                              ;   in Loop: Header=BB2_92 Depth=1
	v_mov_b32_e32 v31, v40
	s_add_u32 s8, s36, 0x1000
	s_addc_u32 s9, s37, 0
	s_mov_b64 s[4:5], s[38:39]
	s_mov_b64 s[10:11], s[34:35]
	s_mov_b32 s12, s41
	s_mov_b32 s13, s40
	;; [unrolled: 1-line block ×3, first 2 shown]
	s_getpc_b64 s[0:1]
	s_add_u32 s0, s0, _Z46ncclDevFunc_Reduce_RING_SIMPLE_Prod_bf16_0_1_4v@rel32@lo+4
	s_addc_u32 s1, s1, _Z46ncclDevFunc_Reduce_RING_SIMPLE_Prod_bf16_0_1_4v@rel32@hi+12
	s_delay_alu instid0(SALU_CYCLE_1)
	s_swappc_b64 s[30:31], s[0:1]
.LBB2_512:                              ;   in Loop: Header=BB2_92 Depth=1
	s_mov_b32 s0, 0
.LBB2_513:                              ;   in Loop: Header=BB2_92 Depth=1
	s_delay_alu instid0(SALU_CYCLE_1)
	s_and_not1_b32 vcc_lo, exec_lo, s0
	s_cbranch_vccnz .LBB2_515
; %bb.514:                              ;   in Loop: Header=BB2_92 Depth=1
	v_mov_b32_e32 v31, v40
	s_add_u32 s8, s36, 0x1000
	s_addc_u32 s9, s37, 0
	s_mov_b64 s[4:5], s[38:39]
	s_mov_b64 s[10:11], s[34:35]
	s_mov_b32 s12, s41
	s_mov_b32 s13, s40
	;; [unrolled: 1-line block ×3, first 2 shown]
	s_getpc_b64 s[0:1]
	s_add_u32 s0, s0, _Z46ncclDevFunc_Reduce_RING_SIMPLE_Prod_bf16_0_0_4v@rel32@lo+4
	s_addc_u32 s1, s1, _Z46ncclDevFunc_Reduce_RING_SIMPLE_Prod_bf16_0_0_4v@rel32@hi+12
	s_delay_alu instid0(SALU_CYCLE_1)
	s_swappc_b64 s[30:31], s[0:1]
.LBB2_515:                              ;   in Loop: Header=BB2_92 Depth=1
	s_mov_b32 s0, 0
.LBB2_516:                              ;   in Loop: Header=BB2_92 Depth=1
	s_delay_alu instid0(SALU_CYCLE_1)
	s_and_b32 vcc_lo, exec_lo, s0
	s_cbranch_vccz .LBB2_525
; %bb.517:                              ;   in Loop: Header=BB2_92 Depth=1
	v_cmp_lt_i16_e64 s0, s48, 17
	s_delay_alu instid0(VALU_DEP_1)
	s_and_b32 vcc_lo, exec_lo, s0
	s_mov_b32 s0, -1
	s_cbranch_vccnz .LBB2_523
; %bb.518:                              ;   in Loop: Header=BB2_92 Depth=1
	v_cmp_ne_u16_e64 s0, s48, 17
	s_delay_alu instid0(VALU_DEP_1)
	s_and_b32 vcc_lo, exec_lo, s0
	s_mov_b32 s0, -1
	s_cbranch_vccz .LBB2_520
; %bb.519:                              ;   in Loop: Header=BB2_92 Depth=1
	v_mov_b32_e32 v31, v40
	s_add_u32 s8, s36, 0x1000
	s_addc_u32 s9, s37, 0
	s_mov_b64 s[4:5], s[38:39]
	s_mov_b64 s[10:11], s[34:35]
	s_mov_b32 s12, s41
	s_mov_b32 s13, s40
	;; [unrolled: 1-line block ×3, first 2 shown]
	s_getpc_b64 s[0:1]
	s_add_u32 s0, s0, _Z45ncclDevFunc_Reduce_RING_SIMPLE_Prod_f64_0_0_4v@rel32@lo+4
	s_addc_u32 s1, s1, _Z45ncclDevFunc_Reduce_RING_SIMPLE_Prod_f64_0_0_4v@rel32@hi+12
	s_delay_alu instid0(SALU_CYCLE_1)
	s_swappc_b64 s[30:31], s[0:1]
	s_mov_b32 s0, 0
.LBB2_520:                              ;   in Loop: Header=BB2_92 Depth=1
	s_delay_alu instid0(SALU_CYCLE_1)
	s_and_not1_b32 vcc_lo, exec_lo, s0
	s_cbranch_vccnz .LBB2_522
; %bb.521:                              ;   in Loop: Header=BB2_92 Depth=1
	v_mov_b32_e32 v31, v40
	s_add_u32 s8, s36, 0x1000
	s_addc_u32 s9, s37, 0
	s_mov_b64 s[4:5], s[38:39]
	s_mov_b64 s[10:11], s[34:35]
	s_mov_b32 s12, s41
	s_mov_b32 s13, s40
	;; [unrolled: 1-line block ×3, first 2 shown]
	s_getpc_b64 s[0:1]
	s_add_u32 s0, s0, _Z45ncclDevFunc_Reduce_RING_SIMPLE_Prod_f32_0_0_4v@rel32@lo+4
	s_addc_u32 s1, s1, _Z45ncclDevFunc_Reduce_RING_SIMPLE_Prod_f32_0_0_4v@rel32@hi+12
	s_delay_alu instid0(SALU_CYCLE_1)
	s_swappc_b64 s[30:31], s[0:1]
.LBB2_522:                              ;   in Loop: Header=BB2_92 Depth=1
	s_mov_b32 s0, 0
.LBB2_523:                              ;   in Loop: Header=BB2_92 Depth=1
	s_delay_alu instid0(SALU_CYCLE_1)
	s_and_not1_b32 vcc_lo, exec_lo, s0
	s_cbranch_vccnz .LBB2_525
; %bb.524:                              ;   in Loop: Header=BB2_92 Depth=1
	v_mov_b32_e32 v31, v40
	s_add_u32 s8, s36, 0x1000
	s_addc_u32 s9, s37, 0
	s_mov_b64 s[4:5], s[38:39]
	s_mov_b64 s[10:11], s[34:35]
	s_mov_b32 s12, s41
	s_mov_b32 s13, s40
	;; [unrolled: 1-line block ×3, first 2 shown]
	s_getpc_b64 s[0:1]
	s_add_u32 s0, s0, _Z45ncclDevFunc_Reduce_RING_SIMPLE_Prod_f16_0_0_4v@rel32@lo+4
	s_addc_u32 s1, s1, _Z45ncclDevFunc_Reduce_RING_SIMPLE_Prod_f16_0_0_4v@rel32@hi+12
	s_delay_alu instid0(SALU_CYCLE_1)
	s_swappc_b64 s[30:31], s[0:1]
.LBB2_525:                              ;   in Loop: Header=BB2_92 Depth=1
	s_mov_b32 s0, 0
.LBB2_526:                              ;   in Loop: Header=BB2_92 Depth=1
	s_delay_alu instid0(SALU_CYCLE_1)
	s_and_not1_b32 vcc_lo, exec_lo, s0
	s_cbranch_vccnz .LBB2_542
; %bb.527:                              ;   in Loop: Header=BB2_92 Depth=1
	s_cmp_gt_u32 s48, 12
	s_mov_b32 s0, -1
	s_cbranch_scc0 .LBB2_537
; %bb.528:                              ;   in Loop: Header=BB2_92 Depth=1
	v_cmp_lt_i16_e64 s0, s48, 14
	s_delay_alu instid0(VALU_DEP_1)
	s_and_b32 vcc_lo, exec_lo, s0
	s_mov_b32 s0, -1
	s_cbranch_vccnz .LBB2_534
; %bb.529:                              ;   in Loop: Header=BB2_92 Depth=1
	v_cmp_ne_u16_e64 s0, s48, 14
	s_delay_alu instid0(VALU_DEP_1)
	s_and_b32 vcc_lo, exec_lo, s0
	s_mov_b32 s0, -1
	s_cbranch_vccz .LBB2_531
; %bb.530:                              ;   in Loop: Header=BB2_92 Depth=1
	v_mov_b32_e32 v31, v40
	s_add_u32 s8, s36, 0x1000
	s_addc_u32 s9, s37, 0
	s_mov_b64 s[4:5], s[38:39]
	s_mov_b64 s[10:11], s[34:35]
	s_mov_b32 s12, s41
	s_mov_b32 s13, s40
	;; [unrolled: 1-line block ×3, first 2 shown]
	s_getpc_b64 s[0:1]
	s_add_u32 s0, s0, _Z45ncclDevFunc_Reduce_RING_SIMPLE_Prod_u64_0_0_4v@rel32@lo+4
	s_addc_u32 s1, s1, _Z45ncclDevFunc_Reduce_RING_SIMPLE_Prod_u64_0_0_4v@rel32@hi+12
	s_delay_alu instid0(SALU_CYCLE_1)
	s_swappc_b64 s[30:31], s[0:1]
	s_mov_b32 s0, 0
.LBB2_531:                              ;   in Loop: Header=BB2_92 Depth=1
	s_delay_alu instid0(SALU_CYCLE_1)
	s_and_not1_b32 vcc_lo, exec_lo, s0
	s_cbranch_vccnz .LBB2_533
; %bb.532:                              ;   in Loop: Header=BB2_92 Depth=1
	v_mov_b32_e32 v31, v40
	s_add_u32 s8, s36, 0x1000
	s_addc_u32 s9, s37, 0
	s_mov_b64 s[4:5], s[38:39]
	s_mov_b64 s[10:11], s[34:35]
	s_mov_b32 s12, s41
	s_mov_b32 s13, s40
	;; [unrolled: 1-line block ×3, first 2 shown]
	s_getpc_b64 s[0:1]
	s_add_u32 s0, s0, _Z45ncclDevFunc_Reduce_RING_SIMPLE_Prod_u32_0_0_4v@rel32@lo+4
	s_addc_u32 s1, s1, _Z45ncclDevFunc_Reduce_RING_SIMPLE_Prod_u32_0_0_4v@rel32@hi+12
	s_delay_alu instid0(SALU_CYCLE_1)
	s_swappc_b64 s[30:31], s[0:1]
.LBB2_533:                              ;   in Loop: Header=BB2_92 Depth=1
	s_mov_b32 s0, 0
.LBB2_534:                              ;   in Loop: Header=BB2_92 Depth=1
	s_delay_alu instid0(SALU_CYCLE_1)
	s_and_not1_b32 vcc_lo, exec_lo, s0
	s_cbranch_vccnz .LBB2_536
; %bb.535:                              ;   in Loop: Header=BB2_92 Depth=1
	v_mov_b32_e32 v31, v40
	s_add_u32 s8, s36, 0x1000
	s_addc_u32 s9, s37, 0
	s_mov_b64 s[4:5], s[38:39]
	s_mov_b64 s[10:11], s[34:35]
	s_mov_b32 s12, s41
	s_mov_b32 s13, s40
	;; [unrolled: 1-line block ×3, first 2 shown]
	s_getpc_b64 s[0:1]
	s_add_u32 s0, s0, _Z44ncclDevFunc_Reduce_RING_SIMPLE_Prod_u8_0_0_4v@rel32@lo+4
	s_addc_u32 s1, s1, _Z44ncclDevFunc_Reduce_RING_SIMPLE_Prod_u8_0_0_4v@rel32@hi+12
	s_delay_alu instid0(SALU_CYCLE_1)
	s_swappc_b64 s[30:31], s[0:1]
.LBB2_536:                              ;   in Loop: Header=BB2_92 Depth=1
	s_mov_b32 s0, 0
.LBB2_537:                              ;   in Loop: Header=BB2_92 Depth=1
	s_delay_alu instid0(SALU_CYCLE_1)
	s_and_b32 vcc_lo, exec_lo, s0
	s_cbranch_vccz .LBB2_542
; %bb.538:                              ;   in Loop: Header=BB2_92 Depth=1
	s_cmp_eq_u32 s48, 12
	s_mov_b32 s0, -1
	s_cbranch_scc1 .LBB2_540
; %bb.539:                              ;   in Loop: Header=BB2_92 Depth=1
	v_mov_b32_e32 v31, v40
	s_add_u32 s8, s36, 0x1000
	s_addc_u32 s9, s37, 0
	s_mov_b64 s[4:5], s[38:39]
	s_mov_b64 s[10:11], s[34:35]
	s_mov_b32 s12, s41
	s_mov_b32 s13, s40
	s_mov_b32 s14, s33
	s_getpc_b64 s[0:1]
	s_add_u32 s0, s0, _Z47ncclDevFunc_Reduce_RING_SIMPLE_Sum_f8e4m3_0_0_4v@rel32@lo+4
	s_addc_u32 s1, s1, _Z47ncclDevFunc_Reduce_RING_SIMPLE_Sum_f8e4m3_0_0_4v@rel32@hi+12
	s_delay_alu instid0(SALU_CYCLE_1)
	s_swappc_b64 s[30:31], s[0:1]
	s_mov_b32 s0, 0
.LBB2_540:                              ;   in Loop: Header=BB2_92 Depth=1
	s_delay_alu instid0(SALU_CYCLE_1)
	s_and_not1_b32 vcc_lo, exec_lo, s0
	s_cbranch_vccnz .LBB2_542
; %bb.541:                              ;   in Loop: Header=BB2_92 Depth=1
	v_mov_b32_e32 v31, v40
	s_add_u32 s8, s36, 0x1000
	s_addc_u32 s9, s37, 0
	s_mov_b64 s[4:5], s[38:39]
	s_mov_b64 s[10:11], s[34:35]
	s_mov_b32 s12, s41
	s_mov_b32 s13, s40
	;; [unrolled: 1-line block ×3, first 2 shown]
	s_getpc_b64 s[0:1]
	s_add_u32 s0, s0, _Z47ncclDevFunc_Reduce_RING_SIMPLE_Sum_f8e5m2_0_0_4v@rel32@lo+4
	s_addc_u32 s1, s1, _Z47ncclDevFunc_Reduce_RING_SIMPLE_Sum_f8e5m2_0_0_4v@rel32@hi+12
	s_delay_alu instid0(SALU_CYCLE_1)
	s_swappc_b64 s[30:31], s[0:1]
.LBB2_542:                              ;   in Loop: Header=BB2_92 Depth=1
	s_mov_b32 s0, 0
.LBB2_543:                              ;   in Loop: Header=BB2_92 Depth=1
	s_delay_alu instid0(SALU_CYCLE_1)
	s_and_not1_b32 vcc_lo, exec_lo, s0
	s_cbranch_vccnz .LBB2_578
; %bb.544:                              ;   in Loop: Header=BB2_92 Depth=1
	s_cmp_gt_u32 s48, 4
	s_mov_b32 s0, -1
	s_cbranch_scc0 .LBB2_565
; %bb.545:                              ;   in Loop: Header=BB2_92 Depth=1
	s_cmp_gt_u32 s48, 7
	s_cbranch_scc0 .LBB2_555
; %bb.546:                              ;   in Loop: Header=BB2_92 Depth=1
	v_cmp_lt_i16_e64 s0, s48, 9
	s_delay_alu instid0(VALU_DEP_1)
	s_and_b32 vcc_lo, exec_lo, s0
	s_mov_b32 s0, -1
	s_cbranch_vccnz .LBB2_552
; %bb.547:                              ;   in Loop: Header=BB2_92 Depth=1
	v_cmp_ne_u16_e64 s0, s48, 9
	s_delay_alu instid0(VALU_DEP_1)
	s_and_b32 vcc_lo, exec_lo, s0
	s_mov_b32 s0, -1
	s_cbranch_vccz .LBB2_549
; %bb.548:                              ;   in Loop: Header=BB2_92 Depth=1
	v_mov_b32_e32 v31, v40
	s_add_u32 s8, s36, 0x1000
	s_addc_u32 s9, s37, 0
	s_mov_b64 s[4:5], s[38:39]
	s_mov_b64 s[10:11], s[34:35]
	s_mov_b32 s12, s41
	s_mov_b32 s13, s40
	;; [unrolled: 1-line block ×3, first 2 shown]
	s_getpc_b64 s[0:1]
	s_add_u32 s0, s0, _Z45ncclDevFunc_Reduce_RING_SIMPLE_Sum_bf16_0_1_4v@rel32@lo+4
	s_addc_u32 s1, s1, _Z45ncclDevFunc_Reduce_RING_SIMPLE_Sum_bf16_0_1_4v@rel32@hi+12
	s_delay_alu instid0(SALU_CYCLE_1)
	s_swappc_b64 s[30:31], s[0:1]
	s_mov_b32 s0, 0
.LBB2_549:                              ;   in Loop: Header=BB2_92 Depth=1
	s_delay_alu instid0(SALU_CYCLE_1)
	s_and_not1_b32 vcc_lo, exec_lo, s0
	s_cbranch_vccnz .LBB2_551
; %bb.550:                              ;   in Loop: Header=BB2_92 Depth=1
	v_mov_b32_e32 v31, v40
	s_add_u32 s8, s36, 0x1000
	s_addc_u32 s9, s37, 0
	s_mov_b64 s[4:5], s[38:39]
	s_mov_b64 s[10:11], s[34:35]
	s_mov_b32 s12, s41
	s_mov_b32 s13, s40
	;; [unrolled: 1-line block ×3, first 2 shown]
	s_getpc_b64 s[0:1]
	s_add_u32 s0, s0, _Z45ncclDevFunc_Reduce_RING_SIMPLE_Sum_bf16_0_0_4v@rel32@lo+4
	s_addc_u32 s1, s1, _Z45ncclDevFunc_Reduce_RING_SIMPLE_Sum_bf16_0_0_4v@rel32@hi+12
	s_delay_alu instid0(SALU_CYCLE_1)
	s_swappc_b64 s[30:31], s[0:1]
.LBB2_551:                              ;   in Loop: Header=BB2_92 Depth=1
	s_mov_b32 s0, 0
.LBB2_552:                              ;   in Loop: Header=BB2_92 Depth=1
	s_delay_alu instid0(SALU_CYCLE_1)
	s_and_not1_b32 vcc_lo, exec_lo, s0
	s_cbranch_vccnz .LBB2_554
; %bb.553:                              ;   in Loop: Header=BB2_92 Depth=1
	v_mov_b32_e32 v31, v40
	s_add_u32 s8, s36, 0x1000
	s_addc_u32 s9, s37, 0
	s_mov_b64 s[4:5], s[38:39]
	s_mov_b64 s[10:11], s[34:35]
	s_mov_b32 s12, s41
	s_mov_b32 s13, s40
	;; [unrolled: 1-line block ×3, first 2 shown]
	s_getpc_b64 s[0:1]
	s_add_u32 s0, s0, _Z44ncclDevFunc_Reduce_RING_SIMPLE_Sum_f64_0_0_4v@rel32@lo+4
	s_addc_u32 s1, s1, _Z44ncclDevFunc_Reduce_RING_SIMPLE_Sum_f64_0_0_4v@rel32@hi+12
	s_delay_alu instid0(SALU_CYCLE_1)
	s_swappc_b64 s[30:31], s[0:1]
.LBB2_554:                              ;   in Loop: Header=BB2_92 Depth=1
	s_mov_b32 s0, 0
.LBB2_555:                              ;   in Loop: Header=BB2_92 Depth=1
	s_delay_alu instid0(SALU_CYCLE_1)
	s_and_b32 vcc_lo, exec_lo, s0
	s_cbranch_vccz .LBB2_564
; %bb.556:                              ;   in Loop: Header=BB2_92 Depth=1
	v_cmp_lt_i16_e64 s0, s48, 6
	s_delay_alu instid0(VALU_DEP_1)
	s_and_b32 vcc_lo, exec_lo, s0
	s_mov_b32 s0, -1
	s_cbranch_vccnz .LBB2_562
; %bb.557:                              ;   in Loop: Header=BB2_92 Depth=1
	v_cmp_ne_u16_e64 s0, s48, 6
	s_delay_alu instid0(VALU_DEP_1)
	s_and_b32 vcc_lo, exec_lo, s0
	s_mov_b32 s0, -1
	s_cbranch_vccz .LBB2_559
; %bb.558:                              ;   in Loop: Header=BB2_92 Depth=1
	v_mov_b32_e32 v31, v40
	s_add_u32 s8, s36, 0x1000
	s_addc_u32 s9, s37, 0
	s_mov_b64 s[4:5], s[38:39]
	s_mov_b64 s[10:11], s[34:35]
	s_mov_b32 s12, s41
	s_mov_b32 s13, s40
	s_mov_b32 s14, s33
	s_getpc_b64 s[0:1]
	s_add_u32 s0, s0, _Z44ncclDevFunc_Reduce_RING_SIMPLE_Sum_f32_0_0_4v@rel32@lo+4
	s_addc_u32 s1, s1, _Z44ncclDevFunc_Reduce_RING_SIMPLE_Sum_f32_0_0_4v@rel32@hi+12
	s_delay_alu instid0(SALU_CYCLE_1)
	s_swappc_b64 s[30:31], s[0:1]
	s_mov_b32 s0, 0
.LBB2_559:                              ;   in Loop: Header=BB2_92 Depth=1
	s_delay_alu instid0(SALU_CYCLE_1)
	s_and_not1_b32 vcc_lo, exec_lo, s0
	s_cbranch_vccnz .LBB2_561
; %bb.560:                              ;   in Loop: Header=BB2_92 Depth=1
	v_mov_b32_e32 v31, v40
	s_add_u32 s8, s36, 0x1000
	s_addc_u32 s9, s37, 0
	s_mov_b64 s[4:5], s[38:39]
	s_mov_b64 s[10:11], s[34:35]
	s_mov_b32 s12, s41
	s_mov_b32 s13, s40
	;; [unrolled: 1-line block ×3, first 2 shown]
	s_getpc_b64 s[0:1]
	s_add_u32 s0, s0, _Z44ncclDevFunc_Reduce_RING_SIMPLE_Sum_f16_0_0_4v@rel32@lo+4
	s_addc_u32 s1, s1, _Z44ncclDevFunc_Reduce_RING_SIMPLE_Sum_f16_0_0_4v@rel32@hi+12
	s_delay_alu instid0(SALU_CYCLE_1)
	s_swappc_b64 s[30:31], s[0:1]
.LBB2_561:                              ;   in Loop: Header=BB2_92 Depth=1
	s_mov_b32 s0, 0
.LBB2_562:                              ;   in Loop: Header=BB2_92 Depth=1
	s_delay_alu instid0(SALU_CYCLE_1)
	s_and_not1_b32 vcc_lo, exec_lo, s0
	s_cbranch_vccnz .LBB2_564
; %bb.563:                              ;   in Loop: Header=BB2_92 Depth=1
	v_mov_b32_e32 v31, v40
	s_add_u32 s8, s36, 0x1000
	s_addc_u32 s9, s37, 0
	s_mov_b64 s[4:5], s[38:39]
	s_mov_b64 s[10:11], s[34:35]
	s_mov_b32 s12, s41
	s_mov_b32 s13, s40
	;; [unrolled: 1-line block ×3, first 2 shown]
	s_getpc_b64 s[0:1]
	s_add_u32 s0, s0, _Z44ncclDevFunc_Reduce_RING_SIMPLE_Sum_u64_0_0_4v@rel32@lo+4
	s_addc_u32 s1, s1, _Z44ncclDevFunc_Reduce_RING_SIMPLE_Sum_u64_0_0_4v@rel32@hi+12
	s_delay_alu instid0(SALU_CYCLE_1)
	s_swappc_b64 s[30:31], s[0:1]
.LBB2_564:                              ;   in Loop: Header=BB2_92 Depth=1
	s_mov_b32 s0, 0
.LBB2_565:                              ;   in Loop: Header=BB2_92 Depth=1
	s_delay_alu instid0(SALU_CYCLE_1)
	s_and_not1_b32 vcc_lo, exec_lo, s0
	s_cbranch_vccnz .LBB2_578
; %bb.566:                              ;   in Loop: Header=BB2_92 Depth=1
	s_cmp_gt_u32 s48, 1
	s_mov_b32 s0, -1
	s_cbranch_scc0 .LBB2_576
; %bb.567:                              ;   in Loop: Header=BB2_92 Depth=1
	v_cmp_lt_i16_e64 s0, s48, 3
	s_delay_alu instid0(VALU_DEP_1)
	s_and_b32 vcc_lo, exec_lo, s0
	s_mov_b32 s0, -1
	s_cbranch_vccnz .LBB2_573
; %bb.568:                              ;   in Loop: Header=BB2_92 Depth=1
	v_cmp_ne_u16_e64 s0, s48, 3
	s_delay_alu instid0(VALU_DEP_1)
	s_and_b32 vcc_lo, exec_lo, s0
	s_mov_b32 s0, -1
	s_cbranch_vccz .LBB2_570
; %bb.569:                              ;   in Loop: Header=BB2_92 Depth=1
	v_mov_b32_e32 v31, v40
	s_add_u32 s8, s36, 0x1000
	s_addc_u32 s9, s37, 0
	s_mov_b64 s[4:5], s[38:39]
	s_mov_b64 s[10:11], s[34:35]
	s_mov_b32 s12, s41
	s_mov_b32 s13, s40
	;; [unrolled: 1-line block ×3, first 2 shown]
	s_getpc_b64 s[0:1]
	s_add_u32 s0, s0, _Z44ncclDevFunc_Reduce_RING_SIMPLE_Sum_u32_0_0_4v@rel32@lo+4
	s_addc_u32 s1, s1, _Z44ncclDevFunc_Reduce_RING_SIMPLE_Sum_u32_0_0_4v@rel32@hi+12
	s_delay_alu instid0(SALU_CYCLE_1)
	s_swappc_b64 s[30:31], s[0:1]
	s_mov_b32 s0, 0
.LBB2_570:                              ;   in Loop: Header=BB2_92 Depth=1
	s_delay_alu instid0(SALU_CYCLE_1)
	s_and_not1_b32 vcc_lo, exec_lo, s0
	s_cbranch_vccnz .LBB2_572
; %bb.571:                              ;   in Loop: Header=BB2_92 Depth=1
	v_mov_b32_e32 v31, v40
	s_add_u32 s8, s36, 0x1000
	s_addc_u32 s9, s37, 0
	s_mov_b64 s[4:5], s[38:39]
	s_mov_b64 s[10:11], s[34:35]
	s_mov_b32 s12, s41
	s_mov_b32 s13, s40
	;; [unrolled: 1-line block ×3, first 2 shown]
	s_getpc_b64 s[0:1]
	s_add_u32 s0, s0, _Z43ncclDevFunc_Reduce_RING_SIMPLE_Sum_u8_0_0_4v@rel32@lo+4
	s_addc_u32 s1, s1, _Z43ncclDevFunc_Reduce_RING_SIMPLE_Sum_u8_0_0_4v@rel32@hi+12
	s_delay_alu instid0(SALU_CYCLE_1)
	s_swappc_b64 s[30:31], s[0:1]
.LBB2_572:                              ;   in Loop: Header=BB2_92 Depth=1
	s_mov_b32 s0, 0
.LBB2_573:                              ;   in Loop: Header=BB2_92 Depth=1
	s_delay_alu instid0(SALU_CYCLE_1)
	s_and_not1_b32 vcc_lo, exec_lo, s0
	s_cbranch_vccnz .LBB2_575
; %bb.574:                              ;   in Loop: Header=BB2_92 Depth=1
	v_mov_b32_e32 v31, v40
	s_add_u32 s8, s36, 0x1000
	s_addc_u32 s9, s37, 0
	s_mov_b64 s[4:5], s[38:39]
	s_mov_b64 s[10:11], s[34:35]
	s_mov_b32 s12, s41
	s_mov_b32 s13, s40
	;; [unrolled: 1-line block ×3, first 2 shown]
	s_getpc_b64 s[0:1]
	s_add_u32 s0, s0, _Z46ncclDevFunc_Broadcast_RING_SIMPLE_Sum_i8_0_0_4v@rel32@lo+4
	s_addc_u32 s1, s1, _Z46ncclDevFunc_Broadcast_RING_SIMPLE_Sum_i8_0_0_4v@rel32@hi+12
	s_delay_alu instid0(SALU_CYCLE_1)
	s_swappc_b64 s[30:31], s[0:1]
.LBB2_575:                              ;   in Loop: Header=BB2_92 Depth=1
	s_mov_b32 s0, 0
.LBB2_576:                              ;   in Loop: Header=BB2_92 Depth=1
	s_delay_alu instid0(SALU_CYCLE_1)
	s_and_b32 vcc_lo, exec_lo, s0
	s_cbranch_vccz .LBB2_578
; %bb.577:                              ;   in Loop: Header=BB2_92 Depth=1
	v_mov_b32_e32 v31, v40
	s_add_u32 s8, s36, 0x1000
	s_addc_u32 s9, s37, 0
	s_mov_b64 s[4:5], s[38:39]
	s_mov_b64 s[10:11], s[34:35]
	s_mov_b32 s12, s41
	s_mov_b32 s13, s40
	;; [unrolled: 1-line block ×3, first 2 shown]
	s_getpc_b64 s[0:1]
	s_add_u32 s0, s0, _Z42ncclDevFunc_Broadcast_RING_LL_Sum_i8_0_0_4v@rel32@lo+4
	s_addc_u32 s1, s1, _Z42ncclDevFunc_Broadcast_RING_LL_Sum_i8_0_0_4v@rel32@hi+12
	s_delay_alu instid0(SALU_CYCLE_1)
	s_swappc_b64 s[30:31], s[0:1]
.LBB2_578:                              ;   in Loop: Header=BB2_92 Depth=1
	ds_load_b32 v0, v41 offset:17060
	s_waitcnt lgkmcnt(0)
	v_cmp_eq_u32_e32 vcc_lo, -1, v0
	v_readfirstlane_b32 s2, v0
	s_cbranch_vccnz .LBB2_593
; %bb.579:                              ;   in Loop: Header=BB2_92 Depth=1
	s_waitcnt_vscnt null, 0x0
	s_barrier
	buffer_gl0_inv
	s_and_saveexec_b32 s0, s45
	s_cbranch_execz .LBB2_583
; %bb.580:                              ;   in Loop: Header=BB2_92 Depth=1
	s_and_saveexec_b32 s1, s43
	s_cbranch_execz .LBB2_582
; %bb.581:                              ;   in Loop: Header=BB2_92 Depth=1
	v_mov_b32_e32 v42, v41
	ds_store_b64 v41, v[41:42] offset:21208
.LBB2_582:                              ;   in Loop: Header=BB2_92 Depth=1
	s_or_b32 exec_lo, exec_lo, s1
	v_mov_b32_e32 v42, v41
	ds_store_b64 v44, v[41:42]
.LBB2_583:                              ;   in Loop: Header=BB2_92 Depth=1
	s_or_b32 exec_lo, exec_lo, s0
	s_and_saveexec_b32 s0, s42
	s_cbranch_execz .LBB2_595
; %bb.584:                              ;   in Loop: Header=BB2_92 Depth=1
	ds_load_b32 v6, v41 offset:17068
	ds_load_b64 v[2:3], v41 offset:17040
	s_waitcnt lgkmcnt(1)
	v_ashrrev_i32_e32 v5, 31, v6
	s_waitcnt lgkmcnt(0)
	v_add_co_u32 v0, vcc_lo, v2, 1
	v_add_co_ci_u32_e32 v1, vcc_lo, 0, v3, vcc_lo
	v_add_co_u32 v4, vcc_lo, v2, v6
	v_add_co_ci_u32_e32 v5, vcc_lo, v3, v5, vcc_lo
	s_delay_alu instid0(VALU_DEP_1)
	v_cmp_gt_u64_e32 vcc_lo, v[0:1], v[4:5]
	s_cbranch_vccnz .LBB2_594
; %bb.585:                              ;   in Loop: Header=BB2_92 Depth=1
	ds_load_u8 v7, v41 offset:17064
	s_movk_i32 s1, 0x4f0e
	s_movk_i32 s3, 0x4eda
	s_branch .LBB2_587
.LBB2_586:                              ;   in Loop: Header=BB2_587 Depth=2
	s_waitcnt lgkmcnt(0)
	v_ashrrev_i32_e32 v5, 31, v6
	v_add_co_u32 v0, vcc_lo, v0, 1
	v_add_co_ci_u32_e32 v1, vcc_lo, 0, v1, vcc_lo
	v_add_co_u32 v4, vcc_lo, v2, v6
	s_delay_alu instid0(VALU_DEP_4) | instskip(SKIP_2) | instid1(VALU_DEP_1)
	v_add_co_ci_u32_e32 v5, vcc_lo, v3, v5, vcc_lo
	s_add_i32 s1, s1, 64
	s_addk_i32 s3, 0x80
	v_cmp_le_u64_e32 vcc_lo, v[0:1], v[4:5]
	s_cbranch_vccz .LBB2_594
.LBB2_587:                              ;   Parent Loop BB2_92 Depth=1
                                        ; =>  This Inner Loop Header: Depth=2
	s_waitcnt lgkmcnt(0)
	v_and_b32_e32 v4, 0xff, v7
	s_delay_alu instid0(VALU_DEP_1)
	v_cmp_ne_u16_e32 vcc_lo, 0, v4
	s_cbranch_vccz .LBB2_592
; %bb.588:                              ;   in Loop: Header=BB2_587 Depth=2
	v_mov_b32_e32 v4, s3
	ds_load_u8 v4, v4
	s_waitcnt lgkmcnt(0)
	v_and_b32_e32 v4, 1, v4
	s_cbranch_execnz .LBB2_590
.LBB2_589:                              ;   in Loop: Header=BB2_587 Depth=2
	v_mov_b32_e32 v4, s1
	ds_load_u16 v4, v4
	s_waitcnt lgkmcnt(0)
	v_bfe_u32 v4, v4, 6, 1
.LBB2_590:                              ;   in Loop: Header=BB2_587 Depth=2
	s_delay_alu instid0(VALU_DEP_1)
	v_cmp_eq_u32_e32 vcc_lo, 0, v4
	s_cbranch_vccnz .LBB2_586
; %bb.591:                              ;   in Loop: Header=BB2_587 Depth=2
	s_sendmsg_rtn_b64 s[4:5], sendmsg(MSG_RTN_GET_REALTIME)
	ds_load_u8 v7, v41 offset:17064
	ds_load_b32 v2, v41 offset:16560
	ds_load_b64 v[4:5], v41 offset:16664
	v_and_b32_e32 v6, 63, v0
	s_waitcnt lgkmcnt(0)
	v_ashrrev_i32_e32 v3, 31, v2
	s_delay_alu instid0(VALU_DEP_1) | instskip(NEXT) | instid1(VALU_DEP_3)
	v_lshlrev_b64 v[8:9], 10, v[2:3]
	v_dual_mov_b32 v3, s5 :: v_dual_lshlrev_b32 v6, 4, v6
	v_mov_b32_e32 v2, s4
	s_delay_alu instid0(VALU_DEP_3) | instskip(NEXT) | instid1(VALU_DEP_4)
	v_add_co_u32 v4, vcc_lo, v4, v8
	v_add_co_ci_u32_e32 v5, vcc_lo, v5, v9, vcc_lo
	s_delay_alu instid0(VALU_DEP_2) | instskip(NEXT) | instid1(VALU_DEP_2)
	v_add_co_u32 v4, vcc_lo, v4, v6
	v_add_co_ci_u32_e32 v5, vcc_lo, 0, v5, vcc_lo
	flat_store_b128 v[4:5], v[0:3]
	ds_load_b64 v[2:3], v41 offset:17040
	ds_load_b32 v6, v41 offset:17068
	s_branch .LBB2_586
.LBB2_592:                              ;   in Loop: Header=BB2_587 Depth=2
                                        ; implicit-def: $vgpr4
	s_branch .LBB2_589
.LBB2_593:                              ;   in Loop: Header=BB2_92 Depth=1
	s_cbranch_execz .LBB2_92
	s_branch .LBB2_78
.LBB2_594:                              ;   in Loop: Header=BB2_92 Depth=1
	ds_store_b64 v41, v[4:5] offset:17040
.LBB2_595:                              ;   in Loop: Header=BB2_92 Depth=1
	s_or_b32 exec_lo, exec_lo, s0
	v_mov_b32_e32 v9, v43
	s_mov_b32 s8, 0
                                        ; implicit-def: $vgpr0_vgpr1_vgpr2_vgpr3
	s_branch .LBB2_598
.LBB2_596:                              ;   in Loop: Header=BB2_598 Depth=2
	s_or_b32 exec_lo, exec_lo, s5
	v_mov_b32_e32 v4, v9
	s_mov_b32 s5, s2
.LBB2_597:                              ;   in Loop: Header=BB2_598 Depth=2
	s_delay_alu instid0(VALU_DEP_1)
	v_mov_b32_e32 v9, v4
	s_and_not1_b32 vcc_lo, exec_lo, s1
	s_mov_b32 s2, s5
	s_cbranch_vccz .LBB2_91
.LBB2_598:                              ;   Parent Loop BB2_92 Depth=1
                                        ; =>  This Inner Loop Header: Depth=2
	s_ashr_i32 s3, s2, 31
	s_delay_alu instid0(SALU_CYCLE_1) | instskip(NEXT) | instid1(SALU_CYCLE_1)
	s_lshl_b64 s[0:1], s[2:3], 4
	s_add_u32 s0, s46, s0
	s_addc_u32 s1, s47, s1
	s_load_b128 s[4:7], s[0:1], 0x0
	s_mov_b32 s0, exec_lo
	s_waitcnt lgkmcnt(0)
	v_and_b32_e32 v4, s6, v46
	s_delay_alu instid0(VALU_DEP_1)
	v_cmpx_ne_u32_e32 0, v4
	s_cbranch_execz .LBB2_600
; %bb.599:                              ;   in Loop: Header=BB2_598 Depth=2
	v_and_b32_e32 v4, s6, v47
	s_delay_alu instid0(VALU_DEP_1)
	v_bcnt_u32_b32 v4, v4, v45
	ds_store_b8 v4, v43
.LBB2_600:                              ;   in Loop: Header=BB2_598 Depth=2
	s_or_b32 exec_lo, exec_lo, s0
	v_and_b32_e32 v4, s7, v46
	s_bcnt1_i32_b32 s0, s6
	s_mov_b32 s1, exec_lo
	s_delay_alu instid0(VALU_DEP_1)
	v_cmpx_ne_u32_e32 0, v4
	s_cbranch_execz .LBB2_602
; %bb.601:                              ;   in Loop: Header=BB2_598 Depth=2
	v_and_b32_e32 v4, s7, v47
	s_delay_alu instid0(VALU_DEP_1) | instskip(NEXT) | instid1(VALU_DEP_1)
	v_bcnt_u32_b32 v4, v4, 0
	v_add3_u32 v4, v45, s0, v4
	ds_store_b8 v4, v56
.LBB2_602:                              ;   in Loop: Header=BB2_598 Depth=2
	s_or_b32 exec_lo, exec_lo, s1
	s_bcnt1_i32_b32 s6, s7
	s_bfe_u32 s3, s4, 0x2000f
	s_add_i32 s6, s6, s0
	s_cmp_lt_i32 s3, 1
	s_cbranch_scc1 .LBB2_605
; %bb.603:                              ;   in Loop: Header=BB2_598 Depth=2
	s_cmp_lg_u32 s3, 1
	s_cbranch_scc0 .LBB2_606
; %bb.604:                              ;   in Loop: Header=BB2_598 Depth=2
	v_mul_u32_u24_e64 v4, s6, 20
	s_mov_b32 s1, 20
	s_movk_i32 s7, 0x140
	s_cbranch_execz .LBB2_607
	s_branch .LBB2_608
.LBB2_605:                              ;   in Loop: Header=BB2_598 Depth=2
                                        ; implicit-def: $vgpr4
                                        ; implicit-def: $sgpr7
                                        ; implicit-def: $sgpr1
	s_branch .LBB2_609
.LBB2_606:                              ;   in Loop: Header=BB2_598 Depth=2
                                        ; implicit-def: $vgpr4
                                        ; implicit-def: $sgpr7
                                        ; implicit-def: $sgpr1
.LBB2_607:                              ;   in Loop: Header=BB2_598 Depth=2
	s_lshl_b32 s0, s6, 3
	s_mov_b32 s1, 8
	v_mov_b32_e32 v4, s0
	s_movk_i32 s7, 0x80
.LBB2_608:                              ;   in Loop: Header=BB2_598 Depth=2
	s_cbranch_execnz .LBB2_610
.LBB2_609:                              ;   in Loop: Header=BB2_598 Depth=2
	s_lshl_b32 s0, s6, 2
	s_mov_b32 s7, 64
	v_mov_b32_e32 v4, s0
	s_mov_b32 s1, 4
.LBB2_610:                              ;   in Loop: Header=BB2_598 Depth=2
	v_cmp_eq_u32_e64 s0, 0, v9
	s_delay_alu instid0(VALU_DEP_1)
	s_and_saveexec_b32 s9, s0
	s_cbranch_execz .LBB2_612
; %bb.611:                              ;   in Loop: Header=BB2_598 Depth=2
	v_mov_b32_e32 v5, s7
	ds_store_b32 v41, v5 offset:17072
	s_or_b32 exec_lo, exec_lo, s9
	s_delay_alu instid0(SALU_CYCLE_1)
	s_mov_b32 s9, exec_lo
	v_cmpx_lt_i32_e64 v9, v4
	s_cbranch_execz .LBB2_620
	s_branch .LBB2_613
.LBB2_612:                              ;   in Loop: Header=BB2_598 Depth=2
	s_or_b32 exec_lo, exec_lo, s9
	s_delay_alu instid0(SALU_CYCLE_1)
	s_mov_b32 s9, exec_lo
	v_cmpx_lt_i32_e64 v9, v4
	s_cbranch_execz .LBB2_620
.LBB2_613:                              ;   in Loop: Header=BB2_598 Depth=2
	v_cvt_f32_u32_e32 v4, s1
	s_sub_i32 s10, 0, s1
	v_sub_nc_u32_e32 v6, 0, v9
	s_delay_alu instid0(VALU_DEP_2) | instskip(NEXT) | instid1(VALU_DEP_1)
	v_rcp_iflag_f32_e32 v4, v4
	v_max_i32_e32 v6, v9, v6
	s_waitcnt_depctr 0xfff
	v_mul_f32_e32 v4, 0x4f7ffffe, v4
	s_delay_alu instid0(VALU_DEP_1) | instskip(NEXT) | instid1(VALU_DEP_1)
	v_cvt_u32_f32_e32 v4, v4
	v_mul_lo_u32 v5, s10, v4
	s_delay_alu instid0(VALU_DEP_1) | instskip(NEXT) | instid1(VALU_DEP_1)
	v_mul_hi_u32 v5, v4, v5
	v_add_nc_u32_e32 v4, v4, v5
	s_delay_alu instid0(VALU_DEP_1) | instskip(NEXT) | instid1(VALU_DEP_1)
	v_mul_hi_u32 v4, v6, v4
	v_mul_lo_u32 v5, v4, s1
	s_delay_alu instid0(VALU_DEP_1) | instskip(SKIP_1) | instid1(VALU_DEP_2)
	v_sub_nc_u32_e32 v5, v6, v5
	v_add_nc_u32_e32 v6, 1, v4
	v_subrev_nc_u32_e32 v7, s1, v5
	v_cmp_le_u32_e32 vcc_lo, s1, v5
	s_delay_alu instid0(VALU_DEP_2) | instskip(SKIP_1) | instid1(VALU_DEP_2)
	v_dual_cndmask_b32 v5, v5, v7 :: v_dual_cndmask_b32 v4, v4, v6
	v_ashrrev_i32_e32 v7, 31, v9
	v_cmp_le_u32_e32 vcc_lo, s1, v5
	s_delay_alu instid0(VALU_DEP_3) | instskip(SKIP_2) | instid1(VALU_DEP_1)
	v_add_nc_u32_e32 v6, 1, v4
	ds_load_u8 v5, v41 offset:16536
	v_cndmask_b32_e32 v4, v4, v6, vcc_lo
	v_xor_b32_e32 v4, v4, v7
	s_delay_alu instid0(VALU_DEP_1) | instskip(NEXT) | instid1(VALU_DEP_1)
	v_sub_nc_u32_e32 v10, v4, v7
	v_add_nc_u32_e32 v4, v45, v10
	v_mul_lo_u32 v6, v10, s1
	ds_load_u8 v4, v4
	s_waitcnt lgkmcnt(1)
	v_cmp_ne_u16_e64 s1, 0, v5
	v_sub_nc_u32_e32 v5, v9, v6
	s_delay_alu instid0(VALU_DEP_2) | instskip(NEXT) | instid1(VALU_DEP_1)
	s_and_b32 vcc_lo, exec_lo, s1
	v_lshlrev_b32_e32 v11, 4, v5
	s_cbranch_vccz .LBB2_616
; %bb.614:                              ;   in Loop: Header=BB2_598 Depth=2
	s_and_b32 vcc_lo, exec_lo, s1
	s_cbranch_vccz .LBB2_617
.LBB2_615:                              ;   in Loop: Header=BB2_598 Depth=2
	ds_load_b32 v12, v41 offset:16540
	ds_load_b64 v[6:7], v41 offset:16544
	s_waitcnt lgkmcnt(2)
	v_mul_u32_u24_e32 v4, s7, v4
	v_lshlrev_b32_e32 v8, 4, v5
	s_delay_alu instid0(VALU_DEP_1) | instskip(SKIP_1) | instid1(VALU_DEP_1)
	v_add3_u32 v4, v8, s5, v4
	s_waitcnt lgkmcnt(1)
	v_and_b32_e32 v4, v12, v4
	s_waitcnt lgkmcnt(0)
	s_delay_alu instid0(VALU_DEP_1)
	v_add_co_u32 v4, vcc_lo, v6, v4
	v_add_co_ci_u32_e32 v5, vcc_lo, 0, v7, vcc_lo
	flat_load_b128 v[4:7], v[4:5]
	s_cbranch_execz .LBB2_618
	s_branch .LBB2_619
.LBB2_616:                              ;   in Loop: Header=BB2_598 Depth=2
	s_waitcnt lgkmcnt(0)
	v_mul_u32_u24_e32 v0, s7, v4
	v_lshlrev_b32_e32 v1, 4, v5
	s_delay_alu instid0(VALU_DEP_1)
	v_add3_u32 v0, v1, s5, v0
	global_load_b128 v[0:3], v0, s[36:37]
	s_and_b32 vcc_lo, exec_lo, s1
	s_cbranch_vccnz .LBB2_615
.LBB2_617:                              ;   in Loop: Header=BB2_598 Depth=2
                                        ; implicit-def: $vgpr4_vgpr5_vgpr6_vgpr7
                                        ; implicit-def: $vgpr8
.LBB2_618:                              ;   in Loop: Header=BB2_598 Depth=2
	s_waitcnt vmcnt(0) lgkmcnt(0)
	v_dual_mov_b32 v7, v3 :: v_dual_mov_b32 v6, v2
	v_dual_mov_b32 v8, v11 :: v_dual_mov_b32 v5, v1
	v_mov_b32_e32 v4, v0
.LBB2_619:                              ;   in Loop: Header=BB2_598 Depth=2
	s_waitcnt vmcnt(0)
	v_add_nc_u32_e32 v0, s8, v10
	s_delay_alu instid0(VALU_DEP_1)
	v_mad_u64_u32 v[10:11], null, v0, s7, v[8:9]
	s_waitcnt lgkmcnt(0)
	v_dual_mov_b32 v0, v4 :: v_dual_mov_b32 v3, v7
	v_dual_mov_b32 v1, v5 :: v_dual_mov_b32 v2, v6
	ds_store_b128 v10, v[4:7] offset:20176
.LBB2_620:                              ;   in Loop: Header=BB2_598 Depth=2
	s_or_b32 exec_lo, exec_lo, s9
	s_bitcmp0_b32 s4, 14
	s_cselect_b32 s1, -1, 0
	s_delay_alu instid0(SALU_CYCLE_1)
	s_and_b32 vcc_lo, exec_lo, s1
	s_cbranch_vccnz .LBB2_622
; %bb.621:                              ;   in Loop: Header=BB2_598 Depth=2
	v_cmp_gt_i32_e32 vcc_lo, 64, v9
	s_and_b32 s5, s4, 0x3fff
	s_delay_alu instid0(SALU_CYCLE_1) | instskip(SKIP_1) | instid1(VALU_DEP_1)
	s_add_i32 s5, s5, s2
	v_cndmask_b32_e64 v4, 0, s44, vcc_lo
	v_add3_u32 v4, v9, v4, 0xffffffc0
	s_add_i32 s8, s6, s8
	s_cbranch_execnz .LBB2_597
	s_branch .LBB2_623
.LBB2_622:                              ;   in Loop: Header=BB2_598 Depth=2
                                        ; implicit-def: $vgpr4
                                        ; implicit-def: $sgpr5
	s_add_i32 s8, s6, s8
.LBB2_623:                              ;   in Loop: Header=BB2_598 Depth=2
	s_and_saveexec_b32 s5, s0
	s_cbranch_execz .LBB2_596
; %bb.624:                              ;   in Loop: Header=BB2_598 Depth=2
	s_and_b32 s0, s4, 0x3fff
	v_dual_mov_b32 v6, s3 :: v_dual_mov_b32 v7, s8
	s_add_i32 s6, s0, s2
	s_cmp_lg_u32 s0, 0
	v_mov_b32_e32 v9, 0
	s_cselect_b32 s0, s6, -1
	s_delay_alu instid0(SALU_CYCLE_1) | instskip(SKIP_1) | instid1(SALU_CYCLE_1)
	v_dual_mov_b32 v4, s2 :: v_dual_mov_b32 v5, s0
	s_lshr_b32 s0, s4, 17
	v_mov_b32_e32 v8, s0
	ds_store_b64 v41, v[4:5] offset:17056
	ds_store_b8 v41, v6 offset:17064
	ds_store_b32 v41, v7 offset:17068
	ds_store_b16 v41, v8 offset:17066
	s_branch .LBB2_596
	.section	.rodata,"a",@progbits
	.p2align	6, 0x0
	.amdhsa_kernel _Z23ncclDevKernel_Generic_424ncclDevKernelArgsStorageILm4096EE
		.amdhsa_group_segment_fixed_size 21216
		.amdhsa_private_segment_fixed_size 0
		.amdhsa_kernarg_size 4352
		.amdhsa_user_sgpr_count 13
		.amdhsa_user_sgpr_dispatch_ptr 1
		.amdhsa_user_sgpr_queue_ptr 0
		.amdhsa_user_sgpr_kernarg_segment_ptr 1
		.amdhsa_user_sgpr_dispatch_id 1
		.amdhsa_user_sgpr_private_segment_size 0
		.amdhsa_wavefront_size32 1
		.amdhsa_uses_dynamic_stack 1
		.amdhsa_enable_private_segment 1
		.amdhsa_system_sgpr_workgroup_id_x 1
		.amdhsa_system_sgpr_workgroup_id_y 1
		.amdhsa_system_sgpr_workgroup_id_z 1
		.amdhsa_system_sgpr_workgroup_info 0
		.amdhsa_system_vgpr_workitem_id 2
		.amdhsa_next_free_vgpr 57
		.amdhsa_next_free_sgpr 49
		.amdhsa_reserve_vcc 1
		.amdhsa_float_round_mode_32 0
		.amdhsa_float_round_mode_16_64 0
		.amdhsa_float_denorm_mode_32 3
		.amdhsa_float_denorm_mode_16_64 3
		.amdhsa_dx10_clamp 1
		.amdhsa_ieee_mode 1
		.amdhsa_fp16_overflow 0
		.amdhsa_workgroup_processor_mode 1
		.amdhsa_memory_ordered 1
		.amdhsa_forward_progress 0
		.amdhsa_shared_vgpr_count 0
		.amdhsa_exception_fp_ieee_invalid_op 0
		.amdhsa_exception_fp_denorm_src 0
		.amdhsa_exception_fp_ieee_div_zero 0
		.amdhsa_exception_fp_ieee_overflow 0
		.amdhsa_exception_fp_ieee_underflow 0
		.amdhsa_exception_fp_ieee_inexact 0
		.amdhsa_exception_int_div_zero 0
	.end_amdhsa_kernel
	.text
.Lfunc_end2:
	.size	_Z23ncclDevKernel_Generic_424ncclDevKernelArgsStorageILm4096EE, .Lfunc_end2-_Z23ncclDevKernel_Generic_424ncclDevKernelArgsStorageILm4096EE
                                        ; -- End function
	.section	.AMDGPU.csdata,"",@progbits
; Kernel info:
; codeLenInByte = 17472
; NumSgprs: 51
; NumVgprs: 57
; ScratchSize: 0
; MemoryBound: 1
; FloatMode: 240
; IeeeMode: 1
; LDSByteSize: 21216 bytes/workgroup (compile time only)
; SGPRBlocks: 6
; VGPRBlocks: 7
; NumSGPRsForWavesPerEU: 51
; NumVGPRsForWavesPerEU: 57
; Occupancy: 12
; WaveLimiterHint : 0
; COMPUTE_PGM_RSRC2:SCRATCH_EN: 1
; COMPUTE_PGM_RSRC2:USER_SGPR: 13
; COMPUTE_PGM_RSRC2:TRAP_HANDLER: 0
; COMPUTE_PGM_RSRC2:TGID_X_EN: 1
; COMPUTE_PGM_RSRC2:TGID_Y_EN: 1
; COMPUTE_PGM_RSRC2:TGID_Z_EN: 1
; COMPUTE_PGM_RSRC2:TIDIG_COMP_CNT: 2
	.text
	.p2alignl 7, 3214868480
	.fill 96, 4, 3214868480
	.type	__hip_cuid_394b04fe3f1e1c1f,@object ; @__hip_cuid_394b04fe3f1e1c1f
	.section	.bss,"aw",@nobits
	.globl	__hip_cuid_394b04fe3f1e1c1f
__hip_cuid_394b04fe3f1e1c1f:
	.byte	0                               ; 0x0
	.size	__hip_cuid_394b04fe3f1e1c1f, 1

	.hidden	_Z42ncclDevFunc_Broadcast_RING_LL_Sum_i8_0_0_1v
	.hidden	_Z46ncclDevFunc_Broadcast_RING_SIMPLE_Sum_i8_0_0_1v
	.hidden	_Z43ncclDevFunc_Reduce_RING_SIMPLE_Sum_u8_0_0_1v
	.hidden	_Z44ncclDevFunc_Reduce_RING_SIMPLE_Sum_u32_0_0_1v
	.hidden	_Z44ncclDevFunc_Reduce_RING_SIMPLE_Sum_u64_0_0_1v
	.hidden	_Z44ncclDevFunc_Reduce_RING_SIMPLE_Sum_f16_0_0_1v
	.hidden	_Z44ncclDevFunc_Reduce_RING_SIMPLE_Sum_f32_0_0_1v
	.hidden	_Z44ncclDevFunc_Reduce_RING_SIMPLE_Sum_f64_0_0_1v
	.hidden	_Z45ncclDevFunc_Reduce_RING_SIMPLE_Sum_bf16_0_0_1v
	.hidden	_Z45ncclDevFunc_Reduce_RING_SIMPLE_Sum_bf16_0_1_1v
	.hidden	_Z47ncclDevFunc_Reduce_RING_SIMPLE_Sum_f8e4m3_0_0_1v
	.hidden	_Z47ncclDevFunc_Reduce_RING_SIMPLE_Sum_f8e5m2_0_0_1v
	.hidden	_Z44ncclDevFunc_Reduce_RING_SIMPLE_Prod_u8_0_0_1v
	.hidden	_Z45ncclDevFunc_Reduce_RING_SIMPLE_Prod_u32_0_0_1v
	.hidden	_Z45ncclDevFunc_Reduce_RING_SIMPLE_Prod_u64_0_0_1v
	.hidden	_Z45ncclDevFunc_Reduce_RING_SIMPLE_Prod_f16_0_0_1v
	.hidden	_Z45ncclDevFunc_Reduce_RING_SIMPLE_Prod_f32_0_0_1v
	.hidden	_Z45ncclDevFunc_Reduce_RING_SIMPLE_Prod_f64_0_0_1v
	.hidden	_Z46ncclDevFunc_Reduce_RING_SIMPLE_Prod_bf16_0_0_1v
	.hidden	_Z46ncclDevFunc_Reduce_RING_SIMPLE_Prod_bf16_0_1_1v
	.hidden	_Z48ncclDevFunc_Reduce_RING_SIMPLE_Prod_f8e4m3_0_0_1v
	.hidden	_Z48ncclDevFunc_Reduce_RING_SIMPLE_Prod_f8e5m2_0_0_1v
	.hidden	_Z46ncclDevFunc_Reduce_RING_SIMPLE_MinMax_u8_0_0_1v
	.hidden	_Z47ncclDevFunc_Reduce_RING_SIMPLE_MinMax_u32_0_0_1v
	.hidden	_Z47ncclDevFunc_Reduce_RING_SIMPLE_MinMax_u64_0_0_1v
	.hidden	_Z47ncclDevFunc_Reduce_RING_SIMPLE_MinMax_f16_0_0_1v
	.hidden	_Z47ncclDevFunc_Reduce_RING_SIMPLE_MinMax_f32_0_0_1v
	.hidden	_Z47ncclDevFunc_Reduce_RING_SIMPLE_MinMax_f64_0_0_1v
	.hidden	_Z48ncclDevFunc_Reduce_RING_SIMPLE_MinMax_bf16_0_0_1v
	.hidden	_Z48ncclDevFunc_Reduce_RING_SIMPLE_MinMax_bf16_0_1_1v
	.hidden	_Z50ncclDevFunc_Reduce_RING_SIMPLE_MinMax_f8e4m3_0_0_1v
	.hidden	_Z50ncclDevFunc_Reduce_RING_SIMPLE_MinMax_f8e5m2_0_0_1v
	.hidden	_Z49ncclDevFunc_Reduce_RING_SIMPLE_PreMulSum_u8_0_0_1v
	.hidden	_Z50ncclDevFunc_Reduce_RING_SIMPLE_PreMulSum_u32_0_0_1v
	.hidden	_Z50ncclDevFunc_Reduce_RING_SIMPLE_PreMulSum_u64_0_0_1v
	.hidden	_Z50ncclDevFunc_Reduce_RING_SIMPLE_PreMulSum_f16_0_0_1v
	.hidden	_Z50ncclDevFunc_Reduce_RING_SIMPLE_PreMulSum_f32_0_0_1v
	.hidden	_Z50ncclDevFunc_Reduce_RING_SIMPLE_PreMulSum_f64_0_0_1v
	.hidden	_Z51ncclDevFunc_Reduce_RING_SIMPLE_PreMulSum_bf16_0_0_1v
	.hidden	_Z51ncclDevFunc_Reduce_RING_SIMPLE_PreMulSum_bf16_0_1_1v
	.hidden	_Z53ncclDevFunc_Reduce_RING_SIMPLE_PreMulSum_f8e4m3_0_0_1v
	.hidden	_Z53ncclDevFunc_Reduce_RING_SIMPLE_PreMulSum_f8e5m2_0_0_1v
	.hidden	_Z50ncclDevFunc_Reduce_RING_SIMPLE_SumPostDiv_u8_0_0_1v
	.hidden	_Z51ncclDevFunc_Reduce_RING_SIMPLE_SumPostDiv_u32_0_0_1v
	.hidden	_Z51ncclDevFunc_Reduce_RING_SIMPLE_SumPostDiv_u64_0_0_1v
	.hidden	_Z42ncclDevFunc_AllGather_RING_LL_Sum_i8_0_0_1v
	.hidden	_Z46ncclDevFunc_AllGather_RING_SIMPLE_Sum_i8_0_0_1v
	.hidden	_Z41ncclDevFunc_AllGather_PAT_LL_Sum_i8_0_0_1v
	.hidden	_Z45ncclDevFunc_AllGather_PAT_SIMPLE_Sum_i8_0_0_1v
	.hidden	_Z46ncclDevFunc_ReduceScatter_RING_LL_Sum_u8_0_0_1v
	.hidden	_Z47ncclDevFunc_ReduceScatter_RING_LL_Sum_u32_0_0_1v
	.hidden	_Z47ncclDevFunc_ReduceScatter_RING_LL_Sum_u64_0_0_1v
	.hidden	_Z47ncclDevFunc_ReduceScatter_RING_LL_Sum_f16_0_0_1v
	.hidden	_Z47ncclDevFunc_ReduceScatter_RING_LL_Sum_f32_0_0_1v
	.hidden	_Z47ncclDevFunc_ReduceScatter_RING_LL_Sum_f64_0_0_1v
	.hidden	_Z48ncclDevFunc_ReduceScatter_RING_LL_Sum_bf16_0_0_1v
	.hidden	_Z50ncclDevFunc_ReduceScatter_RING_LL_Sum_f8e4m3_0_0_1v
	.hidden	_Z50ncclDevFunc_ReduceScatter_RING_LL_Sum_f8e5m2_0_0_1v
	.hidden	_Z47ncclDevFunc_ReduceScatter_RING_LL_Prod_u8_0_0_1v
	.hidden	_Z48ncclDevFunc_ReduceScatter_RING_LL_Prod_u32_0_0_1v
	.hidden	_Z48ncclDevFunc_ReduceScatter_RING_LL_Prod_u64_0_0_1v
	.hidden	_Z48ncclDevFunc_ReduceScatter_RING_LL_Prod_f16_0_0_1v
	.hidden	_Z48ncclDevFunc_ReduceScatter_RING_LL_Prod_f32_0_0_1v
	.hidden	_Z48ncclDevFunc_ReduceScatter_RING_LL_Prod_f64_0_0_1v
	.hidden	_Z49ncclDevFunc_ReduceScatter_RING_LL_Prod_bf16_0_0_1v
	.hidden	_Z51ncclDevFunc_ReduceScatter_RING_LL_Prod_f8e4m3_0_0_1v
	.hidden	_Z51ncclDevFunc_ReduceScatter_RING_LL_Prod_f8e5m2_0_0_1v
	.hidden	_Z49ncclDevFunc_ReduceScatter_RING_LL_MinMax_u8_0_0_1v
	.hidden	_Z50ncclDevFunc_ReduceScatter_RING_LL_MinMax_u32_0_0_1v
	.hidden	_Z50ncclDevFunc_ReduceScatter_RING_LL_MinMax_u64_0_0_1v
	.hidden	_Z50ncclDevFunc_ReduceScatter_RING_LL_MinMax_f16_0_0_1v
	.hidden	_Z50ncclDevFunc_ReduceScatter_RING_LL_MinMax_f32_0_0_1v
	.hidden	_Z50ncclDevFunc_ReduceScatter_RING_LL_MinMax_f64_0_0_1v
	.hidden	_Z51ncclDevFunc_ReduceScatter_RING_LL_MinMax_bf16_0_0_1v
	.hidden	_Z53ncclDevFunc_ReduceScatter_RING_LL_MinMax_f8e4m3_0_0_1v
	.hidden	_Z53ncclDevFunc_ReduceScatter_RING_LL_MinMax_f8e5m2_0_0_1v
	.hidden	_Z52ncclDevFunc_ReduceScatter_RING_LL_PreMulSum_u8_0_0_1v
	.hidden	_Z53ncclDevFunc_ReduceScatter_RING_LL_PreMulSum_u32_0_0_1v
	.hidden	_Z53ncclDevFunc_ReduceScatter_RING_LL_PreMulSum_u64_0_0_1v
	.hidden	_Z53ncclDevFunc_ReduceScatter_RING_LL_PreMulSum_f16_0_0_1v
	.hidden	_Z53ncclDevFunc_ReduceScatter_RING_LL_PreMulSum_f32_0_0_1v
	.hidden	_Z53ncclDevFunc_ReduceScatter_RING_LL_PreMulSum_f64_0_0_1v
	.hidden	_Z54ncclDevFunc_ReduceScatter_RING_LL_PreMulSum_bf16_0_0_1v
	.hidden	_Z56ncclDevFunc_ReduceScatter_RING_LL_PreMulSum_f8e4m3_0_0_1v
	.hidden	_Z56ncclDevFunc_ReduceScatter_RING_LL_PreMulSum_f8e5m2_0_0_1v
	.hidden	_Z53ncclDevFunc_ReduceScatter_RING_LL_SumPostDiv_u8_0_0_1v
	.hidden	_Z54ncclDevFunc_ReduceScatter_RING_LL_SumPostDiv_u32_0_0_1v
	.hidden	_Z54ncclDevFunc_ReduceScatter_RING_LL_SumPostDiv_u64_0_0_1v
	.hidden	_Z46ncclDevFunc_AllReduce_RING_SIMPLE_Sum_u8_0_0_1v
	.hidden	_Z47ncclDevFunc_AllReduce_RING_SIMPLE_Sum_u32_0_0_1v
	.hidden	_Z47ncclDevFunc_AllReduce_RING_SIMPLE_Sum_u64_0_0_1v
	.hidden	_Z47ncclDevFunc_AllReduce_RING_SIMPLE_Sum_f16_0_0_1v
	.hidden	_Z47ncclDevFunc_AllReduce_RING_SIMPLE_Sum_f32_0_0_1v
	.hidden	_Z47ncclDevFunc_AllReduce_RING_SIMPLE_Sum_f64_0_0_1v
	.hidden	_Z48ncclDevFunc_AllReduce_RING_SIMPLE_Sum_bf16_0_0_1v
	.hidden	_Z48ncclDevFunc_AllReduce_RING_SIMPLE_Sum_bf16_0_1_1v
	.hidden	_Z50ncclDevFunc_AllReduce_RING_SIMPLE_Sum_f8e4m3_0_0_1v
	.hidden	_Z50ncclDevFunc_AllReduce_RING_SIMPLE_Sum_f8e5m2_0_0_1v
	.hidden	_Z47ncclDevFunc_AllReduce_RING_SIMPLE_Prod_u8_0_0_1v
	.hidden	_Z48ncclDevFunc_AllReduce_RING_SIMPLE_Prod_u32_0_0_1v
	.hidden	_Z48ncclDevFunc_AllReduce_RING_SIMPLE_Prod_u64_0_0_1v
	.hidden	_Z48ncclDevFunc_AllReduce_RING_SIMPLE_Prod_f16_0_0_1v
	.hidden	_Z48ncclDevFunc_AllReduce_RING_SIMPLE_Prod_f32_0_0_1v
	.hidden	_Z48ncclDevFunc_AllReduce_RING_SIMPLE_Prod_f64_0_0_1v
	.hidden	_Z49ncclDevFunc_AllReduce_RING_SIMPLE_Prod_bf16_0_0_1v
	.hidden	_Z49ncclDevFunc_AllReduce_RING_SIMPLE_Prod_bf16_0_1_1v
	.hidden	_Z51ncclDevFunc_AllReduce_RING_SIMPLE_Prod_f8e4m3_0_0_1v
	.hidden	_Z51ncclDevFunc_AllReduce_RING_SIMPLE_Prod_f8e5m2_0_0_1v
	.hidden	_Z49ncclDevFunc_AllReduce_RING_SIMPLE_MinMax_u8_0_0_1v
	.hidden	_Z50ncclDevFunc_AllReduce_RING_SIMPLE_MinMax_u32_0_0_1v
	.hidden	_Z50ncclDevFunc_AllReduce_RING_SIMPLE_MinMax_u64_0_0_1v
	.hidden	_Z50ncclDevFunc_AllReduce_RING_SIMPLE_MinMax_f16_0_0_1v
	.hidden	_Z50ncclDevFunc_AllReduce_RING_SIMPLE_MinMax_f32_0_0_1v
	.hidden	_Z50ncclDevFunc_AllReduce_RING_SIMPLE_MinMax_f64_0_0_1v
	.hidden	_Z51ncclDevFunc_AllReduce_RING_SIMPLE_MinMax_bf16_0_0_1v
	.hidden	_Z51ncclDevFunc_AllReduce_RING_SIMPLE_MinMax_bf16_0_1_1v
	.hidden	_Z53ncclDevFunc_AllReduce_RING_SIMPLE_MinMax_f8e4m3_0_0_1v
	.hidden	_Z53ncclDevFunc_AllReduce_RING_SIMPLE_MinMax_f8e5m2_0_0_1v
	.hidden	_Z52ncclDevFunc_AllReduce_RING_SIMPLE_PreMulSum_u8_0_0_1v
	.hidden	_Z53ncclDevFunc_AllReduce_RING_SIMPLE_PreMulSum_u32_0_0_1v
	.hidden	_Z53ncclDevFunc_AllReduce_RING_SIMPLE_PreMulSum_u64_0_0_1v
	.hidden	_Z53ncclDevFunc_AllReduce_RING_SIMPLE_PreMulSum_f16_0_0_1v
	.hidden	_Z53ncclDevFunc_AllReduce_RING_SIMPLE_PreMulSum_f32_0_0_1v
	.hidden	_Z53ncclDevFunc_AllReduce_RING_SIMPLE_PreMulSum_f64_0_0_1v
	.hidden	_Z54ncclDevFunc_AllReduce_RING_SIMPLE_PreMulSum_bf16_0_0_1v
	.hidden	_Z54ncclDevFunc_AllReduce_RING_SIMPLE_PreMulSum_bf16_0_1_1v
	.hidden	_Z56ncclDevFunc_AllReduce_RING_SIMPLE_PreMulSum_f8e4m3_0_0_1v
	.hidden	_Z56ncclDevFunc_AllReduce_RING_SIMPLE_PreMulSum_f8e5m2_0_0_1v
	.hidden	_Z53ncclDevFunc_AllReduce_RING_SIMPLE_SumPostDiv_u8_0_0_1v
	.hidden	_Z54ncclDevFunc_AllReduce_RING_SIMPLE_SumPostDiv_u32_0_0_1v
	.hidden	_Z54ncclDevFunc_AllReduce_RING_SIMPLE_SumPostDiv_u64_0_0_1v
	.hidden	_Z45ncclDevFunc_SendRecv_RING_SIMPLE_Sum_i8_0_0_1v
	.hidden	_Z50ncclDevFunc_AlltoAllPivot_RING_SIMPLE_Sum_i8_0_0_1v
	.hidden	_Z42ncclDevFunc_Broadcast_RING_LL_Sum_i8_0_0_2v
	.hidden	_Z46ncclDevFunc_Broadcast_RING_SIMPLE_Sum_i8_0_0_2v
	.hidden	_Z43ncclDevFunc_Reduce_RING_SIMPLE_Sum_u8_0_0_2v
	.hidden	_Z44ncclDevFunc_Reduce_RING_SIMPLE_Sum_u32_0_0_2v
	.hidden	_Z44ncclDevFunc_Reduce_RING_SIMPLE_Sum_u64_0_0_2v
	.hidden	_Z44ncclDevFunc_Reduce_RING_SIMPLE_Sum_f16_0_0_2v
	.hidden	_Z44ncclDevFunc_Reduce_RING_SIMPLE_Sum_f32_0_0_2v
	.hidden	_Z44ncclDevFunc_Reduce_RING_SIMPLE_Sum_f64_0_0_2v
	.hidden	_Z45ncclDevFunc_Reduce_RING_SIMPLE_Sum_bf16_0_0_2v
	.hidden	_Z45ncclDevFunc_Reduce_RING_SIMPLE_Sum_bf16_0_1_2v
	.hidden	_Z47ncclDevFunc_Reduce_RING_SIMPLE_Sum_f8e4m3_0_0_2v
	.hidden	_Z47ncclDevFunc_Reduce_RING_SIMPLE_Sum_f8e5m2_0_0_2v
	.hidden	_Z44ncclDevFunc_Reduce_RING_SIMPLE_Prod_u8_0_0_2v
	.hidden	_Z45ncclDevFunc_Reduce_RING_SIMPLE_Prod_u32_0_0_2v
	.hidden	_Z45ncclDevFunc_Reduce_RING_SIMPLE_Prod_u64_0_0_2v
	.hidden	_Z45ncclDevFunc_Reduce_RING_SIMPLE_Prod_f16_0_0_2v
	.hidden	_Z45ncclDevFunc_Reduce_RING_SIMPLE_Prod_f32_0_0_2v
	.hidden	_Z45ncclDevFunc_Reduce_RING_SIMPLE_Prod_f64_0_0_2v
	.hidden	_Z46ncclDevFunc_Reduce_RING_SIMPLE_Prod_bf16_0_0_2v
	.hidden	_Z46ncclDevFunc_Reduce_RING_SIMPLE_Prod_bf16_0_1_2v
	.hidden	_Z48ncclDevFunc_Reduce_RING_SIMPLE_Prod_f8e4m3_0_0_2v
	.hidden	_Z48ncclDevFunc_Reduce_RING_SIMPLE_Prod_f8e5m2_0_0_2v
	.hidden	_Z46ncclDevFunc_Reduce_RING_SIMPLE_MinMax_u8_0_0_2v
	.hidden	_Z47ncclDevFunc_Reduce_RING_SIMPLE_MinMax_u32_0_0_2v
	.hidden	_Z47ncclDevFunc_Reduce_RING_SIMPLE_MinMax_u64_0_0_2v
	.hidden	_Z47ncclDevFunc_Reduce_RING_SIMPLE_MinMax_f16_0_0_2v
	.hidden	_Z47ncclDevFunc_Reduce_RING_SIMPLE_MinMax_f32_0_0_2v
	.hidden	_Z47ncclDevFunc_Reduce_RING_SIMPLE_MinMax_f64_0_0_2v
	.hidden	_Z48ncclDevFunc_Reduce_RING_SIMPLE_MinMax_bf16_0_0_2v
	.hidden	_Z48ncclDevFunc_Reduce_RING_SIMPLE_MinMax_bf16_0_1_2v
	.hidden	_Z50ncclDevFunc_Reduce_RING_SIMPLE_MinMax_f8e4m3_0_0_2v
	.hidden	_Z50ncclDevFunc_Reduce_RING_SIMPLE_MinMax_f8e5m2_0_0_2v
	.hidden	_Z49ncclDevFunc_Reduce_RING_SIMPLE_PreMulSum_u8_0_0_2v
	.hidden	_Z50ncclDevFunc_Reduce_RING_SIMPLE_PreMulSum_u32_0_0_2v
	.hidden	_Z50ncclDevFunc_Reduce_RING_SIMPLE_PreMulSum_u64_0_0_2v
	.hidden	_Z50ncclDevFunc_Reduce_RING_SIMPLE_PreMulSum_f16_0_0_2v
	.hidden	_Z50ncclDevFunc_Reduce_RING_SIMPLE_PreMulSum_f32_0_0_2v
	.hidden	_Z50ncclDevFunc_Reduce_RING_SIMPLE_PreMulSum_f64_0_0_2v
	.hidden	_Z51ncclDevFunc_Reduce_RING_SIMPLE_PreMulSum_bf16_0_0_2v
	.hidden	_Z51ncclDevFunc_Reduce_RING_SIMPLE_PreMulSum_bf16_0_1_2v
	.hidden	_Z53ncclDevFunc_Reduce_RING_SIMPLE_PreMulSum_f8e4m3_0_0_2v
	.hidden	_Z53ncclDevFunc_Reduce_RING_SIMPLE_PreMulSum_f8e5m2_0_0_2v
	.hidden	_Z50ncclDevFunc_Reduce_RING_SIMPLE_SumPostDiv_u8_0_0_2v
	.hidden	_Z51ncclDevFunc_Reduce_RING_SIMPLE_SumPostDiv_u32_0_0_2v
	.hidden	_Z51ncclDevFunc_Reduce_RING_SIMPLE_SumPostDiv_u64_0_0_2v
	.hidden	_Z42ncclDevFunc_AllGather_RING_LL_Sum_i8_0_0_2v
	.hidden	_Z46ncclDevFunc_AllGather_RING_SIMPLE_Sum_i8_0_0_2v
	.hidden	_Z41ncclDevFunc_AllGather_PAT_LL_Sum_i8_0_0_2v
	.hidden	_Z45ncclDevFunc_AllGather_PAT_SIMPLE_Sum_i8_0_0_2v
	.hidden	_Z46ncclDevFunc_ReduceScatter_RING_LL_Sum_u8_0_0_2v
	.hidden	_Z47ncclDevFunc_ReduceScatter_RING_LL_Sum_u32_0_0_2v
	.hidden	_Z47ncclDevFunc_ReduceScatter_RING_LL_Sum_u64_0_0_2v
	.hidden	_Z47ncclDevFunc_ReduceScatter_RING_LL_Sum_f16_0_0_2v
	.hidden	_Z47ncclDevFunc_ReduceScatter_RING_LL_Sum_f32_0_0_2v
	.hidden	_Z47ncclDevFunc_ReduceScatter_RING_LL_Sum_f64_0_0_2v
	.hidden	_Z48ncclDevFunc_ReduceScatter_RING_LL_Sum_bf16_0_0_2v
	.hidden	_Z50ncclDevFunc_ReduceScatter_RING_LL_Sum_f8e4m3_0_0_2v
	.hidden	_Z50ncclDevFunc_ReduceScatter_RING_LL_Sum_f8e5m2_0_0_2v
	.hidden	_Z47ncclDevFunc_ReduceScatter_RING_LL_Prod_u8_0_0_2v
	.hidden	_Z48ncclDevFunc_ReduceScatter_RING_LL_Prod_u32_0_0_2v
	.hidden	_Z48ncclDevFunc_ReduceScatter_RING_LL_Prod_u64_0_0_2v
	.hidden	_Z48ncclDevFunc_ReduceScatter_RING_LL_Prod_f16_0_0_2v
	.hidden	_Z48ncclDevFunc_ReduceScatter_RING_LL_Prod_f32_0_0_2v
	.hidden	_Z48ncclDevFunc_ReduceScatter_RING_LL_Prod_f64_0_0_2v
	.hidden	_Z49ncclDevFunc_ReduceScatter_RING_LL_Prod_bf16_0_0_2v
	.hidden	_Z51ncclDevFunc_ReduceScatter_RING_LL_Prod_f8e4m3_0_0_2v
	.hidden	_Z51ncclDevFunc_ReduceScatter_RING_LL_Prod_f8e5m2_0_0_2v
	.hidden	_Z49ncclDevFunc_ReduceScatter_RING_LL_MinMax_u8_0_0_2v
	.hidden	_Z50ncclDevFunc_ReduceScatter_RING_LL_MinMax_u32_0_0_2v
	.hidden	_Z50ncclDevFunc_ReduceScatter_RING_LL_MinMax_u64_0_0_2v
	.hidden	_Z50ncclDevFunc_ReduceScatter_RING_LL_MinMax_f16_0_0_2v
	.hidden	_Z50ncclDevFunc_ReduceScatter_RING_LL_MinMax_f32_0_0_2v
	.hidden	_Z50ncclDevFunc_ReduceScatter_RING_LL_MinMax_f64_0_0_2v
	.hidden	_Z51ncclDevFunc_ReduceScatter_RING_LL_MinMax_bf16_0_0_2v
	.hidden	_Z53ncclDevFunc_ReduceScatter_RING_LL_MinMax_f8e4m3_0_0_2v
	.hidden	_Z53ncclDevFunc_ReduceScatter_RING_LL_MinMax_f8e5m2_0_0_2v
	.hidden	_Z52ncclDevFunc_ReduceScatter_RING_LL_PreMulSum_u8_0_0_2v
	.hidden	_Z53ncclDevFunc_ReduceScatter_RING_LL_PreMulSum_u32_0_0_2v
	.hidden	_Z53ncclDevFunc_ReduceScatter_RING_LL_PreMulSum_u64_0_0_2v
	.hidden	_Z53ncclDevFunc_ReduceScatter_RING_LL_PreMulSum_f16_0_0_2v
	.hidden	_Z53ncclDevFunc_ReduceScatter_RING_LL_PreMulSum_f32_0_0_2v
	.hidden	_Z53ncclDevFunc_ReduceScatter_RING_LL_PreMulSum_f64_0_0_2v
	.hidden	_Z54ncclDevFunc_ReduceScatter_RING_LL_PreMulSum_bf16_0_0_2v
	.hidden	_Z56ncclDevFunc_ReduceScatter_RING_LL_PreMulSum_f8e4m3_0_0_2v
	.hidden	_Z56ncclDevFunc_ReduceScatter_RING_LL_PreMulSum_f8e5m2_0_0_2v
	.hidden	_Z53ncclDevFunc_ReduceScatter_RING_LL_SumPostDiv_u8_0_0_2v
	.hidden	_Z54ncclDevFunc_ReduceScatter_RING_LL_SumPostDiv_u32_0_0_2v
	.hidden	_Z54ncclDevFunc_ReduceScatter_RING_LL_SumPostDiv_u64_0_0_2v
	.hidden	_Z46ncclDevFunc_AllReduce_RING_SIMPLE_Sum_u8_0_0_2v
	.hidden	_Z47ncclDevFunc_AllReduce_RING_SIMPLE_Sum_u32_0_0_2v
	.hidden	_Z47ncclDevFunc_AllReduce_RING_SIMPLE_Sum_u64_0_0_2v
	.hidden	_Z47ncclDevFunc_AllReduce_RING_SIMPLE_Sum_f16_0_0_2v
	.hidden	_Z47ncclDevFunc_AllReduce_RING_SIMPLE_Sum_f32_0_0_2v
	.hidden	_Z47ncclDevFunc_AllReduce_RING_SIMPLE_Sum_f64_0_0_2v
	.hidden	_Z48ncclDevFunc_AllReduce_RING_SIMPLE_Sum_bf16_0_0_2v
	.hidden	_Z48ncclDevFunc_AllReduce_RING_SIMPLE_Sum_bf16_0_1_2v
	.hidden	_Z50ncclDevFunc_AllReduce_RING_SIMPLE_Sum_f8e4m3_0_0_2v
	.hidden	_Z50ncclDevFunc_AllReduce_RING_SIMPLE_Sum_f8e5m2_0_0_2v
	.hidden	_Z47ncclDevFunc_AllReduce_RING_SIMPLE_Prod_u8_0_0_2v
	.hidden	_Z48ncclDevFunc_AllReduce_RING_SIMPLE_Prod_u32_0_0_2v
	.hidden	_Z48ncclDevFunc_AllReduce_RING_SIMPLE_Prod_u64_0_0_2v
	.hidden	_Z48ncclDevFunc_AllReduce_RING_SIMPLE_Prod_f16_0_0_2v
	.hidden	_Z48ncclDevFunc_AllReduce_RING_SIMPLE_Prod_f32_0_0_2v
	.hidden	_Z48ncclDevFunc_AllReduce_RING_SIMPLE_Prod_f64_0_0_2v
	.hidden	_Z49ncclDevFunc_AllReduce_RING_SIMPLE_Prod_bf16_0_0_2v
	.hidden	_Z49ncclDevFunc_AllReduce_RING_SIMPLE_Prod_bf16_0_1_2v
	.hidden	_Z51ncclDevFunc_AllReduce_RING_SIMPLE_Prod_f8e4m3_0_0_2v
	.hidden	_Z51ncclDevFunc_AllReduce_RING_SIMPLE_Prod_f8e5m2_0_0_2v
	.hidden	_Z49ncclDevFunc_AllReduce_RING_SIMPLE_MinMax_u8_0_0_2v
	.hidden	_Z50ncclDevFunc_AllReduce_RING_SIMPLE_MinMax_u32_0_0_2v
	.hidden	_Z50ncclDevFunc_AllReduce_RING_SIMPLE_MinMax_u64_0_0_2v
	.hidden	_Z50ncclDevFunc_AllReduce_RING_SIMPLE_MinMax_f16_0_0_2v
	.hidden	_Z50ncclDevFunc_AllReduce_RING_SIMPLE_MinMax_f32_0_0_2v
	.hidden	_Z50ncclDevFunc_AllReduce_RING_SIMPLE_MinMax_f64_0_0_2v
	.hidden	_Z51ncclDevFunc_AllReduce_RING_SIMPLE_MinMax_bf16_0_0_2v
	.hidden	_Z51ncclDevFunc_AllReduce_RING_SIMPLE_MinMax_bf16_0_1_2v
	.hidden	_Z53ncclDevFunc_AllReduce_RING_SIMPLE_MinMax_f8e4m3_0_0_2v
	.hidden	_Z53ncclDevFunc_AllReduce_RING_SIMPLE_MinMax_f8e5m2_0_0_2v
	.hidden	_Z52ncclDevFunc_AllReduce_RING_SIMPLE_PreMulSum_u8_0_0_2v
	.hidden	_Z53ncclDevFunc_AllReduce_RING_SIMPLE_PreMulSum_u32_0_0_2v
	.hidden	_Z53ncclDevFunc_AllReduce_RING_SIMPLE_PreMulSum_u64_0_0_2v
	.hidden	_Z53ncclDevFunc_AllReduce_RING_SIMPLE_PreMulSum_f16_0_0_2v
	.hidden	_Z53ncclDevFunc_AllReduce_RING_SIMPLE_PreMulSum_f32_0_0_2v
	.hidden	_Z53ncclDevFunc_AllReduce_RING_SIMPLE_PreMulSum_f64_0_0_2v
	.hidden	_Z54ncclDevFunc_AllReduce_RING_SIMPLE_PreMulSum_bf16_0_0_2v
	.hidden	_Z54ncclDevFunc_AllReduce_RING_SIMPLE_PreMulSum_bf16_0_1_2v
	.hidden	_Z56ncclDevFunc_AllReduce_RING_SIMPLE_PreMulSum_f8e4m3_0_0_2v
	.hidden	_Z56ncclDevFunc_AllReduce_RING_SIMPLE_PreMulSum_f8e5m2_0_0_2v
	.hidden	_Z53ncclDevFunc_AllReduce_RING_SIMPLE_SumPostDiv_u8_0_0_2v
	.hidden	_Z54ncclDevFunc_AllReduce_RING_SIMPLE_SumPostDiv_u32_0_0_2v
	.hidden	_Z54ncclDevFunc_AllReduce_RING_SIMPLE_SumPostDiv_u64_0_0_2v
	.hidden	_Z45ncclDevFunc_SendRecv_RING_SIMPLE_Sum_i8_0_0_2v
	.hidden	_Z50ncclDevFunc_AlltoAllPivot_RING_SIMPLE_Sum_i8_0_0_2v
	.hidden	_Z42ncclDevFunc_Broadcast_RING_LL_Sum_i8_0_0_4v
	.hidden	_Z46ncclDevFunc_Broadcast_RING_SIMPLE_Sum_i8_0_0_4v
	.hidden	_Z43ncclDevFunc_Reduce_RING_SIMPLE_Sum_u8_0_0_4v
	.hidden	_Z44ncclDevFunc_Reduce_RING_SIMPLE_Sum_u32_0_0_4v
	.hidden	_Z44ncclDevFunc_Reduce_RING_SIMPLE_Sum_u64_0_0_4v
	.hidden	_Z44ncclDevFunc_Reduce_RING_SIMPLE_Sum_f16_0_0_4v
	.hidden	_Z44ncclDevFunc_Reduce_RING_SIMPLE_Sum_f32_0_0_4v
	.hidden	_Z44ncclDevFunc_Reduce_RING_SIMPLE_Sum_f64_0_0_4v
	.hidden	_Z45ncclDevFunc_Reduce_RING_SIMPLE_Sum_bf16_0_0_4v
	.hidden	_Z45ncclDevFunc_Reduce_RING_SIMPLE_Sum_bf16_0_1_4v
	.hidden	_Z47ncclDevFunc_Reduce_RING_SIMPLE_Sum_f8e4m3_0_0_4v
	.hidden	_Z47ncclDevFunc_Reduce_RING_SIMPLE_Sum_f8e5m2_0_0_4v
	.hidden	_Z44ncclDevFunc_Reduce_RING_SIMPLE_Prod_u8_0_0_4v
	.hidden	_Z45ncclDevFunc_Reduce_RING_SIMPLE_Prod_u32_0_0_4v
	.hidden	_Z45ncclDevFunc_Reduce_RING_SIMPLE_Prod_u64_0_0_4v
	.hidden	_Z45ncclDevFunc_Reduce_RING_SIMPLE_Prod_f16_0_0_4v
	.hidden	_Z45ncclDevFunc_Reduce_RING_SIMPLE_Prod_f32_0_0_4v
	.hidden	_Z45ncclDevFunc_Reduce_RING_SIMPLE_Prod_f64_0_0_4v
	.hidden	_Z46ncclDevFunc_Reduce_RING_SIMPLE_Prod_bf16_0_0_4v
	.hidden	_Z46ncclDevFunc_Reduce_RING_SIMPLE_Prod_bf16_0_1_4v
	.hidden	_Z48ncclDevFunc_Reduce_RING_SIMPLE_Prod_f8e4m3_0_0_4v
	.hidden	_Z48ncclDevFunc_Reduce_RING_SIMPLE_Prod_f8e5m2_0_0_4v
	.hidden	_Z46ncclDevFunc_Reduce_RING_SIMPLE_MinMax_u8_0_0_4v
	.hidden	_Z47ncclDevFunc_Reduce_RING_SIMPLE_MinMax_u32_0_0_4v
	.hidden	_Z47ncclDevFunc_Reduce_RING_SIMPLE_MinMax_u64_0_0_4v
	.hidden	_Z47ncclDevFunc_Reduce_RING_SIMPLE_MinMax_f16_0_0_4v
	.hidden	_Z47ncclDevFunc_Reduce_RING_SIMPLE_MinMax_f32_0_0_4v
	.hidden	_Z47ncclDevFunc_Reduce_RING_SIMPLE_MinMax_f64_0_0_4v
	.hidden	_Z48ncclDevFunc_Reduce_RING_SIMPLE_MinMax_bf16_0_0_4v
	.hidden	_Z48ncclDevFunc_Reduce_RING_SIMPLE_MinMax_bf16_0_1_4v
	.hidden	_Z50ncclDevFunc_Reduce_RING_SIMPLE_MinMax_f8e4m3_0_0_4v
	.hidden	_Z50ncclDevFunc_Reduce_RING_SIMPLE_MinMax_f8e5m2_0_0_4v
	.hidden	_Z49ncclDevFunc_Reduce_RING_SIMPLE_PreMulSum_u8_0_0_4v
	.hidden	_Z50ncclDevFunc_Reduce_RING_SIMPLE_PreMulSum_u32_0_0_4v
	.hidden	_Z50ncclDevFunc_Reduce_RING_SIMPLE_PreMulSum_u64_0_0_4v
	.hidden	_Z50ncclDevFunc_Reduce_RING_SIMPLE_PreMulSum_f16_0_0_4v
	.hidden	_Z50ncclDevFunc_Reduce_RING_SIMPLE_PreMulSum_f32_0_0_4v
	.hidden	_Z50ncclDevFunc_Reduce_RING_SIMPLE_PreMulSum_f64_0_0_4v
	.hidden	_Z51ncclDevFunc_Reduce_RING_SIMPLE_PreMulSum_bf16_0_0_4v
	.hidden	_Z51ncclDevFunc_Reduce_RING_SIMPLE_PreMulSum_bf16_0_1_4v
	.hidden	_Z53ncclDevFunc_Reduce_RING_SIMPLE_PreMulSum_f8e4m3_0_0_4v
	.hidden	_Z53ncclDevFunc_Reduce_RING_SIMPLE_PreMulSum_f8e5m2_0_0_4v
	.hidden	_Z50ncclDevFunc_Reduce_RING_SIMPLE_SumPostDiv_u8_0_0_4v
	.hidden	_Z51ncclDevFunc_Reduce_RING_SIMPLE_SumPostDiv_u32_0_0_4v
	.hidden	_Z51ncclDevFunc_Reduce_RING_SIMPLE_SumPostDiv_u64_0_0_4v
	.hidden	_Z42ncclDevFunc_AllGather_RING_LL_Sum_i8_0_0_4v
	.hidden	_Z46ncclDevFunc_AllGather_RING_SIMPLE_Sum_i8_0_0_4v
	.hidden	_Z41ncclDevFunc_AllGather_PAT_LL_Sum_i8_0_0_4v
	.hidden	_Z45ncclDevFunc_AllGather_PAT_SIMPLE_Sum_i8_0_0_4v
	.hidden	_Z46ncclDevFunc_ReduceScatter_RING_LL_Sum_u8_0_0_4v
	.hidden	_Z47ncclDevFunc_ReduceScatter_RING_LL_Sum_u32_0_0_4v
	.hidden	_Z47ncclDevFunc_ReduceScatter_RING_LL_Sum_u64_0_0_4v
	.hidden	_Z47ncclDevFunc_ReduceScatter_RING_LL_Sum_f16_0_0_4v
	.hidden	_Z47ncclDevFunc_ReduceScatter_RING_LL_Sum_f32_0_0_4v
	.hidden	_Z47ncclDevFunc_ReduceScatter_RING_LL_Sum_f64_0_0_4v
	.hidden	_Z48ncclDevFunc_ReduceScatter_RING_LL_Sum_bf16_0_0_4v
	.hidden	_Z50ncclDevFunc_ReduceScatter_RING_LL_Sum_f8e4m3_0_0_4v
	.hidden	_Z50ncclDevFunc_ReduceScatter_RING_LL_Sum_f8e5m2_0_0_4v
	.hidden	_Z47ncclDevFunc_ReduceScatter_RING_LL_Prod_u8_0_0_4v
	.hidden	_Z48ncclDevFunc_ReduceScatter_RING_LL_Prod_u32_0_0_4v
	.hidden	_Z48ncclDevFunc_ReduceScatter_RING_LL_Prod_u64_0_0_4v
	.hidden	_Z48ncclDevFunc_ReduceScatter_RING_LL_Prod_f16_0_0_4v
	.hidden	_Z48ncclDevFunc_ReduceScatter_RING_LL_Prod_f32_0_0_4v
	.hidden	_Z48ncclDevFunc_ReduceScatter_RING_LL_Prod_f64_0_0_4v
	.hidden	_Z49ncclDevFunc_ReduceScatter_RING_LL_Prod_bf16_0_0_4v
	.hidden	_Z51ncclDevFunc_ReduceScatter_RING_LL_Prod_f8e4m3_0_0_4v
	.hidden	_Z51ncclDevFunc_ReduceScatter_RING_LL_Prod_f8e5m2_0_0_4v
	.hidden	_Z49ncclDevFunc_ReduceScatter_RING_LL_MinMax_u8_0_0_4v
	.hidden	_Z50ncclDevFunc_ReduceScatter_RING_LL_MinMax_u32_0_0_4v
	.hidden	_Z50ncclDevFunc_ReduceScatter_RING_LL_MinMax_u64_0_0_4v
	.hidden	_Z50ncclDevFunc_ReduceScatter_RING_LL_MinMax_f16_0_0_4v
	.hidden	_Z50ncclDevFunc_ReduceScatter_RING_LL_MinMax_f32_0_0_4v
	.hidden	_Z50ncclDevFunc_ReduceScatter_RING_LL_MinMax_f64_0_0_4v
	.hidden	_Z51ncclDevFunc_ReduceScatter_RING_LL_MinMax_bf16_0_0_4v
	.hidden	_Z53ncclDevFunc_ReduceScatter_RING_LL_MinMax_f8e4m3_0_0_4v
	.hidden	_Z53ncclDevFunc_ReduceScatter_RING_LL_MinMax_f8e5m2_0_0_4v
	.hidden	_Z52ncclDevFunc_ReduceScatter_RING_LL_PreMulSum_u8_0_0_4v
	.hidden	_Z53ncclDevFunc_ReduceScatter_RING_LL_PreMulSum_u32_0_0_4v
	.hidden	_Z53ncclDevFunc_ReduceScatter_RING_LL_PreMulSum_u64_0_0_4v
	.hidden	_Z53ncclDevFunc_ReduceScatter_RING_LL_PreMulSum_f16_0_0_4v
	.hidden	_Z53ncclDevFunc_ReduceScatter_RING_LL_PreMulSum_f32_0_0_4v
	.hidden	_Z53ncclDevFunc_ReduceScatter_RING_LL_PreMulSum_f64_0_0_4v
	.hidden	_Z54ncclDevFunc_ReduceScatter_RING_LL_PreMulSum_bf16_0_0_4v
	.hidden	_Z56ncclDevFunc_ReduceScatter_RING_LL_PreMulSum_f8e4m3_0_0_4v
	.hidden	_Z56ncclDevFunc_ReduceScatter_RING_LL_PreMulSum_f8e5m2_0_0_4v
	.hidden	_Z53ncclDevFunc_ReduceScatter_RING_LL_SumPostDiv_u8_0_0_4v
	.hidden	_Z54ncclDevFunc_ReduceScatter_RING_LL_SumPostDiv_u32_0_0_4v
	.hidden	_Z54ncclDevFunc_ReduceScatter_RING_LL_SumPostDiv_u64_0_0_4v
	.hidden	_Z46ncclDevFunc_AllReduce_RING_SIMPLE_Sum_u8_0_0_4v
	.hidden	_Z47ncclDevFunc_AllReduce_RING_SIMPLE_Sum_u32_0_0_4v
	.hidden	_Z47ncclDevFunc_AllReduce_RING_SIMPLE_Sum_u64_0_0_4v
	.hidden	_Z47ncclDevFunc_AllReduce_RING_SIMPLE_Sum_f16_0_0_4v
	.hidden	_Z47ncclDevFunc_AllReduce_RING_SIMPLE_Sum_f32_0_0_4v
	.hidden	_Z47ncclDevFunc_AllReduce_RING_SIMPLE_Sum_f64_0_0_4v
	.hidden	_Z48ncclDevFunc_AllReduce_RING_SIMPLE_Sum_bf16_0_0_4v
	.hidden	_Z48ncclDevFunc_AllReduce_RING_SIMPLE_Sum_bf16_0_1_4v
	.hidden	_Z50ncclDevFunc_AllReduce_RING_SIMPLE_Sum_f8e4m3_0_0_4v
	.hidden	_Z50ncclDevFunc_AllReduce_RING_SIMPLE_Sum_f8e5m2_0_0_4v
	.hidden	_Z47ncclDevFunc_AllReduce_RING_SIMPLE_Prod_u8_0_0_4v
	.hidden	_Z48ncclDevFunc_AllReduce_RING_SIMPLE_Prod_u32_0_0_4v
	.hidden	_Z48ncclDevFunc_AllReduce_RING_SIMPLE_Prod_u64_0_0_4v
	.hidden	_Z48ncclDevFunc_AllReduce_RING_SIMPLE_Prod_f16_0_0_4v
	.hidden	_Z48ncclDevFunc_AllReduce_RING_SIMPLE_Prod_f32_0_0_4v
	.hidden	_Z48ncclDevFunc_AllReduce_RING_SIMPLE_Prod_f64_0_0_4v
	.hidden	_Z49ncclDevFunc_AllReduce_RING_SIMPLE_Prod_bf16_0_0_4v
	.hidden	_Z49ncclDevFunc_AllReduce_RING_SIMPLE_Prod_bf16_0_1_4v
	.hidden	_Z51ncclDevFunc_AllReduce_RING_SIMPLE_Prod_f8e4m3_0_0_4v
	.hidden	_Z51ncclDevFunc_AllReduce_RING_SIMPLE_Prod_f8e5m2_0_0_4v
	.hidden	_Z49ncclDevFunc_AllReduce_RING_SIMPLE_MinMax_u8_0_0_4v
	.hidden	_Z50ncclDevFunc_AllReduce_RING_SIMPLE_MinMax_u32_0_0_4v
	.hidden	_Z50ncclDevFunc_AllReduce_RING_SIMPLE_MinMax_u64_0_0_4v
	.hidden	_Z50ncclDevFunc_AllReduce_RING_SIMPLE_MinMax_f16_0_0_4v
	.hidden	_Z50ncclDevFunc_AllReduce_RING_SIMPLE_MinMax_f32_0_0_4v
	.hidden	_Z50ncclDevFunc_AllReduce_RING_SIMPLE_MinMax_f64_0_0_4v
	.hidden	_Z51ncclDevFunc_AllReduce_RING_SIMPLE_MinMax_bf16_0_0_4v
	.hidden	_Z51ncclDevFunc_AllReduce_RING_SIMPLE_MinMax_bf16_0_1_4v
	.hidden	_Z53ncclDevFunc_AllReduce_RING_SIMPLE_MinMax_f8e4m3_0_0_4v
	.hidden	_Z53ncclDevFunc_AllReduce_RING_SIMPLE_MinMax_f8e5m2_0_0_4v
	.hidden	_Z52ncclDevFunc_AllReduce_RING_SIMPLE_PreMulSum_u8_0_0_4v
	.hidden	_Z53ncclDevFunc_AllReduce_RING_SIMPLE_PreMulSum_u32_0_0_4v
	.hidden	_Z53ncclDevFunc_AllReduce_RING_SIMPLE_PreMulSum_u64_0_0_4v
	.hidden	_Z53ncclDevFunc_AllReduce_RING_SIMPLE_PreMulSum_f16_0_0_4v
	.hidden	_Z53ncclDevFunc_AllReduce_RING_SIMPLE_PreMulSum_f32_0_0_4v
	.hidden	_Z53ncclDevFunc_AllReduce_RING_SIMPLE_PreMulSum_f64_0_0_4v
	.hidden	_Z54ncclDevFunc_AllReduce_RING_SIMPLE_PreMulSum_bf16_0_0_4v
	.hidden	_Z54ncclDevFunc_AllReduce_RING_SIMPLE_PreMulSum_bf16_0_1_4v
	.hidden	_Z56ncclDevFunc_AllReduce_RING_SIMPLE_PreMulSum_f8e4m3_0_0_4v
	.hidden	_Z56ncclDevFunc_AllReduce_RING_SIMPLE_PreMulSum_f8e5m2_0_0_4v
	.hidden	_Z53ncclDevFunc_AllReduce_RING_SIMPLE_SumPostDiv_u8_0_0_4v
	.hidden	_Z54ncclDevFunc_AllReduce_RING_SIMPLE_SumPostDiv_u32_0_0_4v
	.hidden	_Z54ncclDevFunc_AllReduce_RING_SIMPLE_SumPostDiv_u64_0_0_4v
	.hidden	_Z45ncclDevFunc_SendRecv_RING_SIMPLE_Sum_i8_0_0_4v
	.hidden	_Z50ncclDevFunc_AlltoAllPivot_RING_SIMPLE_Sum_i8_0_0_4v
	.ident	"AMD clang version 19.0.0git (https://github.com/RadeonOpenCompute/llvm-project roc-6.4.0 25133 c7fe45cf4b819c5991fe208aaa96edf142730f1d)"
	.section	".note.GNU-stack","",@progbits
	.addrsig
	.addrsig_sym __hip_cuid_394b04fe3f1e1c1f
	.amdgpu_metadata
---
amdhsa.kernels:
  - .args:
      - .offset:         0
        .size:           4096
        .value_kind:     by_value
      - .offset:         4096
        .size:           4
        .value_kind:     hidden_block_count_x
      - .offset:         4100
        .size:           4
        .value_kind:     hidden_block_count_y
      - .offset:         4104
        .size:           4
        .value_kind:     hidden_block_count_z
      - .offset:         4108
        .size:           2
        .value_kind:     hidden_group_size_x
      - .offset:         4110
        .size:           2
        .value_kind:     hidden_group_size_y
      - .offset:         4112
        .size:           2
        .value_kind:     hidden_group_size_z
      - .offset:         4114
        .size:           2
        .value_kind:     hidden_remainder_x
      - .offset:         4116
        .size:           2
        .value_kind:     hidden_remainder_y
      - .offset:         4118
        .size:           2
        .value_kind:     hidden_remainder_z
      - .offset:         4136
        .size:           8
        .value_kind:     hidden_global_offset_x
      - .offset:         4144
        .size:           8
        .value_kind:     hidden_global_offset_y
      - .offset:         4152
        .size:           8
        .value_kind:     hidden_global_offset_z
      - .offset:         4160
        .size:           2
        .value_kind:     hidden_grid_dims
      - .offset:         4176
        .size:           8
        .value_kind:     hidden_hostcall_buffer
      - .offset:         4184
        .size:           8
        .value_kind:     hidden_multigrid_sync_arg
      - .offset:         4192
        .size:           8
        .value_kind:     hidden_heap_v1
      - .offset:         4200
        .size:           8
        .value_kind:     hidden_default_queue
      - .offset:         4208
        .size:           8
        .value_kind:     hidden_completion_action
      - .offset:         4296
        .size:           8
        .value_kind:     hidden_queue_ptr
    .group_segment_fixed_size: 21216
    .kernarg_segment_align: 16
    .kernarg_segment_size: 4352
    .language:       OpenCL C
    .language_version:
      - 2
      - 0
    .max_flat_workgroup_size: 256
    .name:           _Z23ncclDevKernel_Generic_124ncclDevKernelArgsStorageILm4096EE
    .private_segment_fixed_size: 0
    .sgpr_count:     51
    .sgpr_spill_count: 0
    .symbol:         _Z23ncclDevKernel_Generic_124ncclDevKernelArgsStorageILm4096EE.kd
    .uniform_work_group_size: 1
    .uses_dynamic_stack: true
    .vgpr_count:     57
    .vgpr_spill_count: 0
    .wavefront_size: 32
    .workgroup_processor_mode: 1
  - .args:
      - .offset:         0
        .size:           4096
        .value_kind:     by_value
      - .offset:         4096
        .size:           4
        .value_kind:     hidden_block_count_x
      - .offset:         4100
        .size:           4
        .value_kind:     hidden_block_count_y
      - .offset:         4104
        .size:           4
        .value_kind:     hidden_block_count_z
      - .offset:         4108
        .size:           2
        .value_kind:     hidden_group_size_x
      - .offset:         4110
        .size:           2
        .value_kind:     hidden_group_size_y
      - .offset:         4112
        .size:           2
        .value_kind:     hidden_group_size_z
      - .offset:         4114
        .size:           2
        .value_kind:     hidden_remainder_x
      - .offset:         4116
        .size:           2
        .value_kind:     hidden_remainder_y
      - .offset:         4118
        .size:           2
        .value_kind:     hidden_remainder_z
      - .offset:         4136
        .size:           8
        .value_kind:     hidden_global_offset_x
      - .offset:         4144
        .size:           8
        .value_kind:     hidden_global_offset_y
      - .offset:         4152
        .size:           8
        .value_kind:     hidden_global_offset_z
      - .offset:         4160
        .size:           2
        .value_kind:     hidden_grid_dims
      - .offset:         4176
        .size:           8
        .value_kind:     hidden_hostcall_buffer
      - .offset:         4184
        .size:           8
        .value_kind:     hidden_multigrid_sync_arg
      - .offset:         4192
        .size:           8
        .value_kind:     hidden_heap_v1
      - .offset:         4200
        .size:           8
        .value_kind:     hidden_default_queue
      - .offset:         4208
        .size:           8
        .value_kind:     hidden_completion_action
      - .offset:         4296
        .size:           8
        .value_kind:     hidden_queue_ptr
    .group_segment_fixed_size: 21216
    .kernarg_segment_align: 16
    .kernarg_segment_size: 4352
    .language:       OpenCL C
    .language_version:
      - 2
      - 0
    .max_flat_workgroup_size: 256
    .name:           _Z23ncclDevKernel_Generic_224ncclDevKernelArgsStorageILm4096EE
    .private_segment_fixed_size: 0
    .sgpr_count:     51
    .sgpr_spill_count: 0
    .symbol:         _Z23ncclDevKernel_Generic_224ncclDevKernelArgsStorageILm4096EE.kd
    .uniform_work_group_size: 1
    .uses_dynamic_stack: true
    .vgpr_count:     57
    .vgpr_spill_count: 0
    .wavefront_size: 32
    .workgroup_processor_mode: 1
  - .args:
      - .offset:         0
        .size:           4096
        .value_kind:     by_value
      - .offset:         4096
        .size:           4
        .value_kind:     hidden_block_count_x
      - .offset:         4100
        .size:           4
        .value_kind:     hidden_block_count_y
      - .offset:         4104
        .size:           4
        .value_kind:     hidden_block_count_z
      - .offset:         4108
        .size:           2
        .value_kind:     hidden_group_size_x
      - .offset:         4110
        .size:           2
        .value_kind:     hidden_group_size_y
      - .offset:         4112
        .size:           2
        .value_kind:     hidden_group_size_z
      - .offset:         4114
        .size:           2
        .value_kind:     hidden_remainder_x
      - .offset:         4116
        .size:           2
        .value_kind:     hidden_remainder_y
      - .offset:         4118
        .size:           2
        .value_kind:     hidden_remainder_z
      - .offset:         4136
        .size:           8
        .value_kind:     hidden_global_offset_x
      - .offset:         4144
        .size:           8
        .value_kind:     hidden_global_offset_y
      - .offset:         4152
        .size:           8
        .value_kind:     hidden_global_offset_z
      - .offset:         4160
        .size:           2
        .value_kind:     hidden_grid_dims
      - .offset:         4176
        .size:           8
        .value_kind:     hidden_hostcall_buffer
      - .offset:         4184
        .size:           8
        .value_kind:     hidden_multigrid_sync_arg
      - .offset:         4192
        .size:           8
        .value_kind:     hidden_heap_v1
      - .offset:         4200
        .size:           8
        .value_kind:     hidden_default_queue
      - .offset:         4208
        .size:           8
        .value_kind:     hidden_completion_action
      - .offset:         4296
        .size:           8
        .value_kind:     hidden_queue_ptr
    .group_segment_fixed_size: 21216
    .kernarg_segment_align: 16
    .kernarg_segment_size: 4352
    .language:       OpenCL C
    .language_version:
      - 2
      - 0
    .max_flat_workgroup_size: 256
    .name:           _Z23ncclDevKernel_Generic_424ncclDevKernelArgsStorageILm4096EE
    .private_segment_fixed_size: 0
    .sgpr_count:     51
    .sgpr_spill_count: 0
    .symbol:         _Z23ncclDevKernel_Generic_424ncclDevKernelArgsStorageILm4096EE.kd
    .uniform_work_group_size: 1
    .uses_dynamic_stack: true
    .vgpr_count:     57
    .vgpr_spill_count: 0
    .wavefront_size: 32
    .workgroup_processor_mode: 1
amdhsa.target:   amdgcn-amd-amdhsa--gfx1100
amdhsa.version:
  - 1
  - 2
...

	.end_amdgpu_metadata
